;; amdgpu-corpus repo=ROCm/rocFFT kind=compiled arch=gfx1030 opt=O3
	.text
	.amdgcn_target "amdgcn-amd-amdhsa--gfx1030"
	.amdhsa_code_object_version 6
	.protected	bluestein_single_back_len1625_dim1_sp_op_CI_CI ; -- Begin function bluestein_single_back_len1625_dim1_sp_op_CI_CI
	.globl	bluestein_single_back_len1625_dim1_sp_op_CI_CI
	.p2align	8
	.type	bluestein_single_back_len1625_dim1_sp_op_CI_CI,@function
bluestein_single_back_len1625_dim1_sp_op_CI_CI: ; @bluestein_single_back_len1625_dim1_sp_op_CI_CI
; %bb.0:
	s_load_dwordx4 s[12:15], s[4:5], 0x28
	v_mul_u32_u24_e32 v1, 0x3f1, v0
	s_mov_b64 s[18:19], s[2:3]
	s_mov_b64 s[16:17], s[0:1]
	v_mov_b32_e32 v6, 0
	s_add_u32 s16, s16, s7
	v_lshrrev_b32_e32 v2, 16, v1
	s_addc_u32 s17, s17, 0
	s_mov_b32 s0, exec_lo
	v_lshl_add_u32 v5, s6, 1, v2
	s_waitcnt lgkmcnt(0)
	v_cmpx_gt_u64_e64 s[12:13], v[5:6]
	s_cbranch_execz .LBB0_15
; %bb.1:
	s_clause 0x1
	s_load_dwordx4 s[8:11], s[4:5], 0x18
	s_load_dwordx2 s[6:7], s[4:5], 0x0
	v_mul_lo_u16 v1, 0x41, v2
	v_mov_b32_e32 v6, v5
	v_sub_nc_u16 v37, v0, v1
	v_and_b32_e32 v206, 0xffff, v37
	v_lshlrev_b32_e32 v33, 3, v206
	s_waitcnt lgkmcnt(0)
	s_load_dwordx4 s[0:3], s[8:9], 0x0
	s_clause 0x2
	global_load_dwordx2 v[191:192], v33, s[6:7]
	global_load_dwordx2 v[187:188], v33, s[6:7] offset:1000
	global_load_dwordx2 v[185:186], v33, s[6:7] offset:2000
	v_add_co_u32 v168, s8, s6, v33
	v_add_co_ci_u32_e64 v169, null, s7, 0, s8
	buffer_store_dword v6, off, s[16:19], 0 offset:8 ; 4-byte Folded Spill
	buffer_store_dword v7, off, s[16:19], 0 offset:12 ; 4-byte Folded Spill
	v_add_co_u32 v8, vcc_lo, 0x800, v168
	v_add_co_ci_u32_e32 v9, vcc_lo, 0, v169, vcc_lo
	v_add_co_u32 v170, vcc_lo, 0x1000, v168
	v_add_co_ci_u32_e32 v171, vcc_lo, 0, v169, vcc_lo
	global_load_dwordx2 v[197:198], v[8:9], off offset:952
	buffer_store_dword v8, off, s[16:19], 0 ; 4-byte Folded Spill
	buffer_store_dword v9, off, s[16:19], 0 offset:4 ; 4-byte Folded Spill
	v_add_co_u32 v166, vcc_lo, 0x1800, v168
	s_waitcnt lgkmcnt(0)
	v_mad_u64_u32 v[0:1], null, s2, v5, 0
	v_mad_u64_u32 v[3:4], null, s0, v206, 0
	v_add_co_ci_u32_e32 v167, vcc_lo, 0, v169, vcc_lo
	v_add_co_u32 v164, vcc_lo, 0x2000, v168
	v_mad_u64_u32 v[5:6], null, s3, v5, v[1:2]
	v_add_co_ci_u32_e32 v165, vcc_lo, 0, v169, vcc_lo
	v_add_co_u32 v162, vcc_lo, 0x2800, v168
	v_add_co_ci_u32_e32 v163, vcc_lo, 0, v169, vcc_lo
	v_mad_u64_u32 v[6:7], null, s1, v206, v[4:5]
	v_mov_b32_e32 v1, v5
	s_mul_i32 s3, s1, 0x7d
	s_mul_hi_u32 s6, s0, 0x7d
	s_mul_i32 s2, s0, 0x7d
	s_add_i32 s3, s6, s3
	v_lshlrev_b64 v[0:1], 3, v[0:1]
	v_mov_b32_e32 v4, v6
	s_lshl_b64 s[6:7], s[2:3], 3
	v_and_b32_e32 v2, 1, v2
	s_clause 0x2
	global_load_dwordx2 v[195:196], v[8:9], off offset:1952
	global_load_dwordx2 v[193:194], v[170:171], off offset:904
	;; [unrolled: 1-line block ×3, first 2 shown]
	v_lshlrev_b64 v[3:4], 3, v[3:4]
	v_add_co_u32 v0, vcc_lo, s14, v0
	v_add_co_ci_u32_e32 v1, vcc_lo, s15, v1, vcc_lo
	s_clause 0x3
	global_load_dwordx2 v[183:184], v[166:167], off offset:856
	global_load_dwordx2 v[176:177], v[166:167], off offset:1856
	;; [unrolled: 1-line block ×4, first 2 shown]
	v_add_co_u32 v0, vcc_lo, v0, v3
	v_add_co_ci_u32_e32 v1, vcc_lo, v1, v4, vcc_lo
	v_add_co_u32 v3, vcc_lo, v0, s6
	v_add_co_ci_u32_e32 v4, vcc_lo, s7, v1, vcc_lo
	s_clause 0x1
	global_load_dwordx2 v[9:10], v[0:1], off
	global_load_dwordx2 v[11:12], v[3:4], off
	v_add_co_u32 v5, vcc_lo, v3, s6
	v_add_co_ci_u32_e32 v6, vcc_lo, s7, v4, vcc_lo
	v_add_co_u32 v7, vcc_lo, v5, s6
	v_add_co_ci_u32_e32 v8, vcc_lo, s7, v6, vcc_lo
	;; [unrolled: 2-line block ×3, first 2 shown]
	s_clause 0x1
	global_load_dwordx2 v[13:14], v[5:6], off
	global_load_dwordx2 v[7:8], v[7:8], off
	v_add_co_u32 v3, vcc_lo, v0, s6
	v_add_co_ci_u32_e32 v4, vcc_lo, s7, v1, vcc_lo
	global_load_dwordx2 v[15:16], v[0:1], off
	v_add_co_u32 v0, vcc_lo, v3, s6
	v_add_co_ci_u32_e32 v1, vcc_lo, s7, v4, vcc_lo
	;; [unrolled: 3-line block ×8, first 2 shown]
	global_load_dwordx2 v[29:30], v[3:4], off
	s_clause 0x1
	global_load_dwordx2 v[179:180], v[162:163], off offset:760
	global_load_dwordx2 v[181:182], v[162:163], off offset:1760
	global_load_dwordx2 v[31:32], v[0:1], off
	v_cmp_eq_u32_e32 vcc_lo, 1, v2
	s_load_dwordx2 s[2:3], s[4:5], 0x38
	s_load_dwordx4 s[8:11], s[10:11], 0x0
	v_cndmask_b32_e64 v2, 0, 0x659, vcc_lo
	v_cmp_gt_u16_e32 vcc_lo, 60, v37
	v_lshlrev_b32_e32 v161, 3, v2
	v_add_nc_u32_e32 v205, v161, v33
	v_add_nc_u32_e32 v3, 0xc00, v205
	;; [unrolled: 1-line block ×5, first 2 shown]
	s_waitcnt vmcnt(14)
	v_mul_f32_e32 v33, v10, v192
	v_mul_f32_e32 v6, v9, v192
	s_waitcnt vmcnt(13)
	v_mul_f32_e32 v35, v12, v188
	v_mul_f32_e32 v36, v11, v188
	v_fmac_f32_e32 v33, v9, v191
	v_fma_f32 v34, v10, v191, -v6
	v_fmac_f32_e32 v35, v11, v187
	v_fma_f32 v36, v12, v187, -v36
	v_add_nc_u32_e32 v6, 0x2400, v205
	ds_write2_b64 v205, v[33:34], v[35:36] offset1:125
	s_waitcnt vmcnt(12)
	v_mul_f32_e32 v9, v14, v186
	v_mul_f32_e32 v10, v13, v186
	s_waitcnt vmcnt(11)
	v_mul_f32_e32 v11, v8, v198
	v_mul_f32_e32 v12, v7, v198
	v_fmac_f32_e32 v9, v13, v185
	v_fma_f32 v10, v14, v185, -v10
	v_fmac_f32_e32 v11, v7, v197
	s_waitcnt vmcnt(10)
	v_mul_f32_e32 v7, v16, v196
	v_mul_f32_e32 v14, v15, v196
	v_fma_f32 v12, v8, v197, -v12
	s_waitcnt vmcnt(9)
	v_mul_f32_e32 v13, v18, v194
	v_mul_f32_e32 v33, v17, v194
	v_fmac_f32_e32 v7, v15, v195
	v_fma_f32 v8, v16, v195, -v14
	ds_write2_b64 v5, v[9:10], v[11:12] offset0:122 offset1:247
	v_fmac_f32_e32 v13, v17, v193
	v_fma_f32 v14, v18, v193, -v33
	s_waitcnt vmcnt(8)
	v_mul_f32_e32 v9, v20, v190
	v_mul_f32_e32 v10, v19, v190
	s_waitcnt vmcnt(7)
	v_mul_f32_e32 v11, v22, v184
	ds_write2_b64 v3, v[7:8], v[13:14] offset0:116 offset1:241
	v_mul_f32_e32 v8, v21, v184
	v_fmac_f32_e32 v9, v19, v189
	v_fma_f32 v10, v20, v189, -v10
	s_waitcnt vmcnt(6)
	v_mul_f32_e32 v7, v24, v177
	v_fmac_f32_e32 v11, v21, v183
	v_fma_f32 v12, v22, v183, -v8
	v_mul_f32_e32 v8, v23, v177
	s_waitcnt vmcnt(5)
	v_mul_f32_e32 v13, v26, v175
	v_mul_f32_e32 v14, v25, v175
	v_fmac_f32_e32 v7, v23, v176
	v_fma_f32 v8, v24, v176, -v8
	s_waitcnt vmcnt(4)
	v_mul_f32_e32 v15, v28, v173
	v_mul_f32_e32 v16, v27, v173
	v_fmac_f32_e32 v13, v25, v174
	s_waitcnt vmcnt(2)
	v_mul_f32_e32 v17, v30, v180
	v_mul_f32_e32 v18, v29, v180
	s_waitcnt vmcnt(0)
	v_mul_f32_e32 v19, v32, v182
	v_mul_f32_e32 v20, v31, v182
	v_fma_f32 v14, v26, v174, -v14
	v_fmac_f32_e32 v15, v27, v172
	v_fma_f32 v16, v28, v172, -v16
	v_fmac_f32_e32 v17, v29, v179
	;; [unrolled: 2-line block ×3, first 2 shown]
	v_fma_f32 v20, v32, v181, -v20
	ds_write2_b64 v2, v[9:10], v[11:12] offset0:110 offset1:235
	ds_write2_b64 v4, v[7:8], v[13:14] offset0:104 offset1:229
	ds_write2_b64 v6, v[15:16], v[17:18] offset0:98 offset1:223
	ds_write_b64 v205, v[19:20] offset:12000
	s_and_saveexec_b32 s12, vcc_lo
	s_cbranch_execz .LBB0_3
; %bb.2:
	s_clause 0x1
	global_load_dwordx2 v[11:12], v[168:169], off offset:520
	global_load_dwordx2 v[13:14], v[168:169], off offset:1520
	s_clause 0x1
	buffer_load_dword v19, off, s[16:19], 0
	buffer_load_dword v20, off, s[16:19], 0 offset:4
	v_mad_u64_u32 v[0:1], null, 0xffffd328, s0, v[0:1]
	s_mulk_i32 s1, 0xd328
	v_add_nc_u32_e32 v59, 0x800, v205
	s_sub_i32 s0, s1, s0
	v_add_nc_u32_e32 v60, 0x1000, v205
	v_add_nc_u32_e32 v61, 0x1800, v205
	;; [unrolled: 1-line block ×4, first 2 shown]
	v_add_co_u32 v7, s0, v0, s6
	v_add_nc_u32_e32 v63, 0x2800, v205
	s_waitcnt vmcnt(0)
	s_clause 0x2
	global_load_dwordx2 v[17:18], v[19:20], off offset:472
	global_load_dwordx2 v[19:20], v[19:20], off offset:1472
	;; [unrolled: 1-line block ×3, first 2 shown]
	v_add_co_ci_u32_e64 v8, s0, s7, v1, s0
	v_add_co_u32 v9, s0, v7, s6
	global_load_dwordx2 v[0:1], v[0:1], off
	v_add_co_ci_u32_e64 v10, s0, s7, v8, s0
	v_add_co_u32 v15, s0, v9, s6
	v_add_co_ci_u32_e64 v16, s0, s7, v10, s0
	v_add_co_u32 v23, s0, v15, s6
	;; [unrolled: 2-line block ×3, first 2 shown]
	v_add_co_ci_u32_e64 v26, s0, s7, v24, s0
	global_load_dwordx2 v[7:8], v[7:8], off
	global_load_dwordx2 v[9:10], v[9:10], off
	;; [unrolled: 1-line block ×5, first 2 shown]
	v_add_co_u32 v25, s0, v25, s6
	v_add_co_ci_u32_e64 v26, s0, s7, v26, s0
	global_load_dwordx2 v[29:30], v[170:171], off offset:1424
	v_add_co_u32 v31, s0, v25, s6
	v_add_co_ci_u32_e64 v32, s0, s7, v26, s0
	global_load_dwordx2 v[25:26], v[25:26], off
	v_add_co_u32 v33, s0, v31, s6
	v_add_co_ci_u32_e64 v34, s0, s7, v32, s0
	global_load_dwordx2 v[31:32], v[31:32], off
	;; [unrolled: 3-line block ×3, first 2 shown]
	v_add_co_u32 v37, s0, v35, s6
	v_add_co_ci_u32_e64 v38, s0, s7, v36, s0
	s_clause 0x2
	global_load_dwordx2 v[39:40], v[166:167], off offset:376
	global_load_dwordx2 v[41:42], v[166:167], off offset:1376
	;; [unrolled: 1-line block ×3, first 2 shown]
	global_load_dwordx2 v[35:36], v[35:36], off
	global_load_dwordx2 v[45:46], v[37:38], off
	s_clause 0x1
	global_load_dwordx2 v[47:48], v[164:165], off offset:1328
	global_load_dwordx2 v[49:50], v[162:163], off offset:280
	v_add_co_u32 v37, s0, v37, s6
	v_add_co_ci_u32_e64 v38, s0, s7, v38, s0
	v_add_co_u32 v51, s0, 0x3000, v168
	v_add_co_ci_u32_e64 v52, s0, 0, v169, s0
	;; [unrolled: 2-line block ×3, first 2 shown]
	global_load_dwordx2 v[37:38], v[37:38], off
	s_clause 0x1
	global_load_dwordx2 v[55:56], v[162:163], off offset:1280
	global_load_dwordx2 v[51:52], v[51:52], off offset:232
	global_load_dwordx2 v[53:54], v[53:54], off
	s_waitcnt vmcnt(20)
	v_mul_f32_e32 v57, v1, v12
	v_mul_f32_e32 v58, v0, v12
	v_fmac_f32_e32 v57, v0, v11
	v_fma_f32 v58, v1, v11, -v58
	s_waitcnt vmcnt(19)
	v_mul_f32_e32 v12, v8, v14
	v_mul_f32_e32 v1, v7, v14
	s_waitcnt vmcnt(18)
	v_mul_f32_e32 v0, v10, v18
	v_mul_f32_e32 v11, v9, v18
	s_waitcnt vmcnt(17)
	v_mul_f32_e32 v14, v15, v20
	v_fmac_f32_e32 v12, v7, v13
	v_mul_f32_e32 v7, v16, v20
	v_fma_f32 v13, v8, v13, -v1
	v_fmac_f32_e32 v0, v9, v17
	v_fma_f32 v1, v10, v17, -v11
	v_fma_f32 v8, v16, v19, -v14
	v_fmac_f32_e32 v7, v15, v19
	s_waitcnt vmcnt(16)
	v_mul_f32_e32 v9, v24, v22
	v_mul_f32_e32 v10, v23, v22
	s_waitcnt vmcnt(14)
	v_mul_f32_e32 v11, v28, v30
	ds_write2_b64 v205, v[57:58], v[12:13] offset0:65 offset1:190
	ds_write2_b64 v59, v[0:1], v[7:8] offset0:59 offset1:184
	v_mul_f32_e32 v1, v27, v30
	v_fmac_f32_e32 v9, v23, v21
	v_fma_f32 v10, v24, v21, -v10
	v_fmac_f32_e32 v11, v27, v29
	v_fma_f32 v12, v28, v29, -v1
	s_waitcnt vmcnt(10)
	v_mul_f32_e32 v8, v25, v40
	s_waitcnt vmcnt(9)
	v_mul_f32_e32 v14, v31, v42
	v_mul_f32_e32 v0, v26, v40
	;; [unrolled: 1-line block ×3, first 2 shown]
	s_waitcnt vmcnt(8)
	v_mul_f32_e32 v13, v34, v44
	v_fma_f32 v1, v26, v39, -v8
	v_fma_f32 v8, v32, v41, -v14
	v_mul_f32_e32 v14, v33, v44
	s_waitcnt vmcnt(5)
	v_mul_f32_e32 v15, v36, v48
	v_mul_f32_e32 v16, v35, v48
	s_waitcnt vmcnt(4)
	v_mul_f32_e32 v17, v46, v50
	v_mul_f32_e32 v18, v45, v50
	v_fmac_f32_e32 v0, v25, v39
	v_fmac_f32_e32 v7, v31, v41
	;; [unrolled: 1-line block ×3, first 2 shown]
	v_fma_f32 v14, v34, v43, -v14
	v_fmac_f32_e32 v15, v35, v47
	s_waitcnt vmcnt(2)
	v_mul_f32_e32 v19, v38, v56
	v_mul_f32_e32 v20, v37, v56
	s_waitcnt vmcnt(0)
	v_mul_f32_e32 v21, v54, v52
	v_mul_f32_e32 v22, v53, v52
	v_fma_f32 v16, v36, v47, -v16
	v_fmac_f32_e32 v17, v45, v49
	v_fma_f32 v18, v46, v49, -v18
	v_fmac_f32_e32 v19, v37, v55
	;; [unrolled: 2-line block ×3, first 2 shown]
	v_fma_f32 v22, v54, v51, -v22
	ds_write2_b64 v60, v[9:10], v[11:12] offset0:53 offset1:178
	ds_write2_b64 v61, v[0:1], v[7:8] offset0:47 offset1:172
	;; [unrolled: 1-line block ×4, first 2 shown]
	ds_write_b64 v205, v[21:22] offset:12520
.LBB0_3:
	s_or_b32 exec_lo, exec_lo, s12
	s_waitcnt lgkmcnt(0)
	s_waitcnt_vscnt null, 0x0
	s_barrier
	buffer_gl0_inv
	ds_read2_b64 v[44:47], v205 offset1:125
	ds_read2_b64 v[36:39], v5 offset0:122 offset1:247
	ds_read2_b64 v[28:31], v3 offset0:116 offset1:241
	;; [unrolled: 1-line block ×5, first 2 shown]
	ds_read_b64 v[50:51], v205 offset:12000
	s_load_dwordx2 s[4:5], s[4:5], 0x8
	v_mov_b32_e32 v0, 0
	v_mov_b32_e32 v1, 0
                                        ; implicit-def: $vgpr14
                                        ; implicit-def: $vgpr8
                                        ; implicit-def: $vgpr4
                                        ; implicit-def: $vgpr48
                                        ; implicit-def: $vgpr18
                                        ; implicit-def: $vgpr22
	s_and_saveexec_b32 s0, vcc_lo
	s_cbranch_execz .LBB0_5
; %bb.4:
	v_add_nc_u32_e32 v4, 0x800, v205
	v_add_nc_u32_e32 v5, 0x1000, v205
	;; [unrolled: 1-line block ×5, first 2 shown]
	ds_read2_b64 v[0:3], v205 offset0:65 offset1:190
	ds_read2_b64 v[20:23], v4 offset0:59 offset1:184
	;; [unrolled: 1-line block ×6, first 2 shown]
	ds_read_b64 v[48:49], v205 offset:12520
.LBB0_5:
	s_or_b32 exec_lo, exec_lo, s0
	s_waitcnt lgkmcnt(0)
	v_add_f32_e32 v52, v44, v46
	v_add_f32_e32 v53, v45, v47
	v_add_co_u32 v84, s0, 0x41, v206
	v_add_co_ci_u32_e64 v54, null, 0, 0, s0
	v_add_f32_e32 v52, v52, v36
	v_add_f32_e32 v53, v53, v37
	v_add_f32_e32 v54, v50, v46
	v_sub_f32_e32 v55, v47, v51
	v_sub_f32_e32 v56, v46, v50
	v_add_f32_e32 v52, v52, v38
	v_add_f32_e32 v53, v53, v39
	;; [unrolled: 1-line block ×3, first 2 shown]
	v_mul_f32_e32 v60, 0xbf7e222b, v55
	v_sub_f32_e32 v75, v37, v43
	v_add_f32_e32 v46, v52, v28
	v_add_f32_e32 v47, v53, v29
	v_mul_f32_e32 v52, 0xbeedf032, v55
	v_mul_f32_e32 v53, 0xbeedf032, v56
	;; [unrolled: 1-line block ×3, first 2 shown]
	v_add_f32_e32 v46, v46, v30
	v_add_f32_e32 v47, v47, v31
	v_mul_f32_e32 v59, 0xbf52af12, v56
	v_mul_f32_e32 v61, 0xbf7e222b, v56
	v_mul_f32_e32 v62, 0xbf6f5d39, v55
	v_add_f32_e32 v46, v46, v24
	v_add_f32_e32 v47, v47, v25
	v_fma_f32 v63, 0x3f62ad3f, v54, -v52
	v_fma_f32 v67, 0x3df6dbef, v54, -v60
	v_mul_f32_e32 v68, 0xbf6f5d39, v56
	v_add_f32_e32 v46, v46, v26
	v_add_f32_e32 v47, v47, v27
	v_mul_f32_e32 v69, 0xbf29c268, v55
	v_mul_f32_e32 v71, 0xbf29c268, v56
	;; [unrolled: 1-line block ×3, first 2 shown]
	v_add_f32_e32 v46, v46, v32
	v_add_f32_e32 v47, v47, v33
	v_mul_f32_e32 v56, 0xbe750f2a, v56
	v_add_f32_e32 v77, v42, v36
	v_mul_f32_e32 v78, 0xbf52af12, v75
	v_add_f32_e32 v46, v46, v34
	v_add_f32_e32 v47, v47, v35
	v_sub_f32_e32 v36, v36, v42
	v_fmamk_f32 v64, v57, 0x3f62ad3f, v53
	v_fmac_f32_e32 v52, 0x3f62ad3f, v54
	v_add_f32_e32 v46, v46, v40
	v_add_f32_e32 v47, v47, v41
	v_fma_f32 v53, 0x3f62ad3f, v57, -v53
	v_fma_f32 v65, 0x3f116cb1, v54, -v58
	v_fmamk_f32 v66, v57, 0x3f116cb1, v59
	v_add_f32_e32 v46, v46, v42
	v_add_f32_e32 v47, v47, v43
	v_fmac_f32_e32 v58, 0x3f116cb1, v54
	v_fma_f32 v59, 0x3f116cb1, v57, -v59
	v_add_f32_e32 v63, v44, v63
	v_add_f32_e32 v46, v46, v50
	;; [unrolled: 1-line block ×3, first 2 shown]
	v_fmamk_f32 v50, v57, 0x3df6dbef, v61
	v_add_f32_e32 v51, v44, v67
	v_fmac_f32_e32 v60, 0x3df6dbef, v54
	v_fma_f32 v61, 0x3df6dbef, v57, -v61
	v_fma_f32 v67, 0xbeb58ec6, v54, -v62
	v_fmamk_f32 v70, v57, 0xbeb58ec6, v68
	v_fmac_f32_e32 v62, 0xbeb58ec6, v54
	v_fma_f32 v68, 0xbeb58ec6, v57, -v68
	v_fma_f32 v72, 0xbf3f9e67, v54, -v69
	v_fmamk_f32 v73, v57, 0xbf3f9e67, v71
	;; [unrolled: 4-line block ×3, first 2 shown]
	v_fmac_f32_e32 v55, 0xbf788fa5, v54
	v_fma_f32 v42, 0xbf788fa5, v57, -v56
	v_fma_f32 v54, 0x3f116cb1, v77, -v78
	v_add_f32_e32 v37, v43, v37
	v_mul_f32_e32 v43, 0xbf52af12, v36
	v_add_f32_e32 v64, v45, v64
	v_add_f32_e32 v52, v44, v52
	;; [unrolled: 1-line block ×23, first 2 shown]
	v_mul_f32_e32 v54, 0xbf6f5d39, v75
	v_fmamk_f32 v55, v37, 0x3f116cb1, v43
	v_fma_f32 v43, 0x3f116cb1, v37, -v43
	v_mul_f32_e32 v56, 0xbf6f5d39, v36
	v_mul_f32_e32 v63, 0xbe750f2a, v75
	v_fma_f32 v57, 0xbeb58ec6, v77, -v54
	v_add_f32_e32 v55, v55, v64
	v_add_f32_e32 v43, v43, v53
	v_fmamk_f32 v53, v37, 0xbeb58ec6, v56
	v_fmac_f32_e32 v54, 0xbeb58ec6, v77
	v_fma_f32 v56, 0xbeb58ec6, v37, -v56
	v_mul_f32_e32 v64, 0xbe750f2a, v36
	v_add_f32_e32 v57, v57, v65
	v_fma_f32 v65, 0xbf788fa5, v77, -v63
	v_add_f32_e32 v54, v54, v58
	v_add_f32_e32 v56, v56, v59
	v_mul_f32_e32 v58, 0x3f29c268, v75
	v_fmamk_f32 v59, v37, 0xbf788fa5, v64
	v_fma_f32 v64, 0xbf788fa5, v37, -v64
	v_add_f32_e32 v51, v65, v51
	v_fmac_f32_e32 v63, 0xbf788fa5, v77
	v_fma_f32 v65, 0xbf3f9e67, v77, -v58
	v_add_f32_e32 v53, v53, v66
	v_add_f32_e32 v61, v64, v61
	v_mul_f32_e32 v64, 0x3f7e222b, v75
	v_add_f32_e32 v50, v59, v50
	v_mul_f32_e32 v59, 0x3f29c268, v36
	v_add_f32_e32 v60, v63, v60
	v_add_f32_e32 v63, v65, v67
	v_fmac_f32_e32 v58, 0xbf3f9e67, v77
	v_mul_f32_e32 v66, 0x3f7e222b, v36
	v_fma_f32 v67, 0x3df6dbef, v77, -v64
	v_fmac_f32_e32 v64, 0x3df6dbef, v77
	v_fmamk_f32 v65, v37, 0xbf3f9e67, v59
	v_fma_f32 v59, 0xbf3f9e67, v37, -v59
	v_add_f32_e32 v58, v58, v62
	v_fmamk_f32 v62, v37, 0x3df6dbef, v66
	v_fma_f32 v66, 0x3df6dbef, v37, -v66
	v_add_f32_e32 v64, v64, v69
	v_sub_f32_e32 v69, v39, v41
	v_add_f32_e32 v59, v59, v68
	v_mul_f32_e32 v68, 0x3eedf032, v75
	v_add_f32_e32 v62, v62, v73
	v_mul_f32_e32 v36, 0x3eedf032, v36
	v_add_f32_e32 v66, v66, v71
	v_add_f32_e32 v71, v40, v38
	v_mul_f32_e32 v73, 0xbf7e222b, v69
	v_sub_f32_e32 v38, v38, v40
	v_add_f32_e32 v65, v65, v70
	v_add_f32_e32 v67, v67, v72
	v_fma_f32 v70, 0x3f62ad3f, v77, -v68
	v_fmamk_f32 v72, v37, 0x3f62ad3f, v36
	v_fmac_f32_e32 v68, 0x3f62ad3f, v77
	v_fma_f32 v36, 0x3f62ad3f, v37, -v36
	v_fma_f32 v37, 0x3df6dbef, v71, -v73
	v_add_f32_e32 v39, v41, v39
	v_mul_f32_e32 v40, 0xbf7e222b, v38
	v_add_f32_e32 v41, v68, v44
	v_add_f32_e32 v36, v36, v42
	;; [unrolled: 1-line block ×3, first 2 shown]
	v_mul_f32_e32 v42, 0xbe750f2a, v69
	v_fmamk_f32 v44, v39, 0x3df6dbef, v40
	v_fma_f32 v40, 0x3df6dbef, v39, -v40
	v_mul_f32_e32 v45, 0xbe750f2a, v38
	v_fmac_f32_e32 v78, 0x3f116cb1, v77
	v_fma_f32 v68, 0xbf788fa5, v71, -v42
	v_add_f32_e32 v44, v44, v55
	v_add_f32_e32 v40, v40, v43
	v_fmamk_f32 v43, v39, 0xbf788fa5, v45
	v_fmac_f32_e32 v42, 0xbf788fa5, v71
	v_add_f32_e32 v55, v68, v57
	v_mul_f32_e32 v57, 0x3f6f5d39, v69
	v_fma_f32 v45, 0xbf788fa5, v39, -v45
	v_add_f32_e32 v43, v43, v53
	v_mul_f32_e32 v53, 0x3f6f5d39, v38
	v_add_f32_e32 v42, v42, v54
	v_fma_f32 v68, 0xbeb58ec6, v71, -v57
	v_add_f32_e32 v45, v45, v56
	v_mul_f32_e32 v54, 0x3eedf032, v69
	v_fmamk_f32 v56, v39, 0xbeb58ec6, v53
	v_fmac_f32_e32 v57, 0xbeb58ec6, v71
	v_add_f32_e32 v51, v68, v51
	v_fma_f32 v53, 0xbeb58ec6, v39, -v53
	v_fma_f32 v68, 0x3f62ad3f, v71, -v54
	v_add_f32_e32 v50, v56, v50
	v_mul_f32_e32 v56, 0x3eedf032, v38
	v_add_f32_e32 v52, v78, v52
	v_fmac_f32_e32 v73, 0x3df6dbef, v71
	v_add_f32_e32 v57, v57, v60
	v_add_f32_e32 v53, v53, v61
	;; [unrolled: 1-line block ×3, first 2 shown]
	v_mul_f32_e32 v61, 0xbf52af12, v69
	v_fmamk_f32 v63, v39, 0x3f62ad3f, v56
	v_fmac_f32_e32 v54, 0x3f62ad3f, v71
	v_mul_f32_e32 v68, 0xbf52af12, v38
	v_add_f32_e32 v52, v73, v52
	v_fma_f32 v56, 0x3f62ad3f, v39, -v56
	v_fma_f32 v73, 0x3f116cb1, v71, -v61
	v_add_f32_e32 v63, v63, v65
	v_add_f32_e32 v54, v54, v58
	v_fmamk_f32 v58, v39, 0x3f116cb1, v68
	v_mul_f32_e32 v65, 0xbf29c268, v69
	v_fmac_f32_e32 v61, 0x3f116cb1, v71
	v_add_f32_e32 v70, v70, v74
	v_add_f32_e32 v56, v56, v59
	;; [unrolled: 1-line block ×4, first 2 shown]
	v_fma_f32 v62, 0x3f116cb1, v39, -v68
	v_fma_f32 v67, 0xbf3f9e67, v71, -v65
	v_add_f32_e32 v61, v61, v64
	v_sub_f32_e32 v64, v29, v35
	v_mul_f32_e32 v38, 0xbf29c268, v38
	v_add_f32_e32 v62, v62, v66
	v_add_f32_e32 v66, v67, v70
	;; [unrolled: 1-line block ×3, first 2 shown]
	v_mul_f32_e32 v69, 0xbf6f5d39, v64
	v_sub_f32_e32 v28, v28, v34
	v_fmamk_f32 v68, v39, 0xbf3f9e67, v38
	v_fmac_f32_e32 v65, 0xbf3f9e67, v71
	v_fma_f32 v34, 0xbf3f9e67, v39, -v38
	v_fma_f32 v38, 0xbeb58ec6, v67, -v69
	v_add_f32_e32 v29, v35, v29
	v_mul_f32_e32 v35, 0xbf6f5d39, v28
	v_add_f32_e32 v39, v65, v41
	v_add_f32_e32 v34, v34, v36
	v_add_f32_e32 v36, v38, v37
	v_mul_f32_e32 v37, 0x3f29c268, v64
	v_fmamk_f32 v38, v29, 0xbeb58ec6, v35
	v_fma_f32 v35, 0xbeb58ec6, v29, -v35
	v_mul_f32_e32 v41, 0x3f29c268, v28
	v_fmac_f32_e32 v69, 0xbeb58ec6, v67
	v_fma_f32 v65, 0xbf3f9e67, v67, -v37
	v_add_f32_e32 v38, v38, v44
	v_add_f32_e32 v35, v35, v40
	v_fmamk_f32 v40, v29, 0xbf3f9e67, v41
	v_add_f32_e32 v44, v69, v52
	v_add_f32_e32 v52, v65, v55
	v_mul_f32_e32 v55, 0x3eedf032, v64
	v_fmac_f32_e32 v37, 0xbf3f9e67, v67
	v_fma_f32 v41, 0xbf3f9e67, v29, -v41
	v_add_f32_e32 v40, v40, v43
	v_mul_f32_e32 v43, 0x3eedf032, v28
	v_fma_f32 v65, 0x3f62ad3f, v67, -v55
	v_add_f32_e32 v37, v37, v42
	v_add_f32_e32 v41, v41, v45
	v_mul_f32_e32 v42, 0xbf7e222b, v64
	v_fmamk_f32 v45, v29, 0x3f62ad3f, v43
	v_fmac_f32_e32 v55, 0x3f62ad3f, v67
	v_add_f32_e32 v51, v65, v51
	v_fma_f32 v43, 0x3f62ad3f, v29, -v43
	v_fma_f32 v65, 0x3df6dbef, v67, -v42
	v_add_f32_e32 v45, v45, v50
	v_mul_f32_e32 v50, 0xbf7e222b, v28
	v_add_f32_e32 v55, v55, v57
	v_mul_f32_e32 v57, 0x3e750f2a, v64
	v_add_f32_e32 v43, v43, v53
	v_add_f32_e32 v53, v65, v60
	v_fmamk_f32 v60, v29, 0x3df6dbef, v50
	v_fmac_f32_e32 v42, 0x3df6dbef, v67
	v_mul_f32_e32 v65, 0x3e750f2a, v28
	v_fma_f32 v50, 0x3df6dbef, v29, -v50
	v_fma_f32 v69, 0xbf788fa5, v67, -v57
	v_fmac_f32_e32 v57, 0xbf788fa5, v67
	v_add_f32_e32 v42, v42, v54
	v_fmamk_f32 v54, v29, 0xbf788fa5, v65
	v_add_f32_e32 v50, v50, v56
	v_add_f32_e32 v56, v69, v59
	v_mul_f32_e32 v59, 0x3f52af12, v64
	v_add_f32_e32 v60, v60, v63
	v_add_f32_e32 v54, v54, v58
	v_mul_f32_e32 v28, 0x3f52af12, v28
	v_fma_f32 v58, 0xbf788fa5, v29, -v65
	v_fma_f32 v63, 0x3f116cb1, v67, -v59
	v_add_f32_e32 v57, v57, v61
	v_sub_f32_e32 v61, v31, v33
	v_fmamk_f32 v64, v29, 0x3f116cb1, v28
	v_add_f32_e32 v58, v58, v62
	v_add_f32_e32 v62, v63, v66
	;; [unrolled: 1-line block ×3, first 2 shown]
	v_mul_f32_e32 v65, 0xbf29c268, v61
	v_sub_f32_e32 v30, v30, v32
	v_fma_f32 v28, 0x3f116cb1, v29, -v28
	v_fmac_f32_e32 v59, 0x3f116cb1, v67
	v_add_f32_e32 v31, v33, v31
	v_fma_f32 v29, 0xbf3f9e67, v63, -v65
	v_mul_f32_e32 v32, 0xbf29c268, v30
	v_add_f32_e32 v28, v28, v34
	v_mul_f32_e32 v34, 0x3f7e222b, v61
	v_add_f32_e32 v33, v59, v39
	v_add_f32_e32 v29, v29, v36
	v_fmamk_f32 v36, v31, 0xbf3f9e67, v32
	v_fmac_f32_e32 v65, 0xbf3f9e67, v63
	v_fma_f32 v32, 0xbf3f9e67, v31, -v32
	v_mul_f32_e32 v39, 0x3f7e222b, v30
	v_fma_f32 v59, 0x3df6dbef, v63, -v34
	v_add_f32_e32 v36, v36, v38
	v_add_f32_e32 v38, v65, v44
	;; [unrolled: 1-line block ×3, first 2 shown]
	v_fmamk_f32 v35, v31, 0x3df6dbef, v39
	v_add_f32_e32 v44, v59, v52
	v_mul_f32_e32 v52, 0xbf52af12, v61
	v_fmac_f32_e32 v34, 0x3df6dbef, v63
	v_fma_f32 v39, 0x3df6dbef, v31, -v39
	v_add_f32_e32 v35, v35, v40
	v_mul_f32_e32 v40, 0xbf52af12, v30
	v_fma_f32 v59, 0x3f116cb1, v63, -v52
	v_add_f32_e32 v34, v34, v37
	v_add_f32_e32 v37, v39, v41
	v_mul_f32_e32 v39, 0x3e750f2a, v61
	v_fmamk_f32 v41, v31, 0x3f116cb1, v40
	v_add_f32_e32 v51, v59, v51
	v_fma_f32 v40, 0x3f116cb1, v31, -v40
	v_fmac_f32_e32 v52, 0x3f116cb1, v63
	v_fma_f32 v59, 0xbf788fa5, v63, -v39
	v_add_f32_e32 v41, v41, v45
	v_mul_f32_e32 v45, 0x3e750f2a, v30
	v_add_f32_e32 v40, v40, v43
	v_add_f32_e32 v52, v52, v55
	;; [unrolled: 1-line block ×3, first 2 shown]
	v_mul_f32_e32 v53, 0x3eedf032, v61
	v_fmamk_f32 v55, v31, 0xbf788fa5, v45
	v_fmac_f32_e32 v39, 0xbf788fa5, v63
	v_mul_f32_e32 v59, 0x3eedf032, v30
	v_fma_f32 v45, 0xbf788fa5, v31, -v45
	v_fma_f32 v65, 0x3f62ad3f, v63, -v53
	v_fmac_f32_e32 v53, 0x3f62ad3f, v63
	v_add_f32_e32 v39, v39, v42
	v_fmamk_f32 v42, v31, 0x3f62ad3f, v59
	v_add_f32_e32 v45, v45, v50
	v_add_f32_e32 v50, v65, v56
	v_mul_f32_e32 v56, 0xbf6f5d39, v61
	v_add_f32_e32 v53, v53, v57
	v_add_f32_e32 v42, v42, v54
	v_fma_f32 v54, 0x3f62ad3f, v31, -v59
	v_sub_f32_e32 v57, v25, v27
	v_fma_f32 v59, 0xbeb58ec6, v63, -v56
	v_mul_f32_e32 v30, 0xbf6f5d39, v30
	v_add_f32_e32 v55, v55, v60
	v_add_f32_e32 v54, v54, v58
	v_mul_f32_e32 v61, 0xbe750f2a, v57
	v_add_f32_e32 v58, v59, v62
	v_add_f32_e32 v59, v26, v24
	v_sub_f32_e32 v26, v24, v26
	v_fmamk_f32 v60, v31, 0xbeb58ec6, v30
	v_fma_f32 v24, 0xbeb58ec6, v31, -v30
	v_add_f32_e32 v27, v27, v25
	v_fma_f32 v30, 0xbf788fa5, v59, -v61
	v_mul_f32_e32 v25, 0xbe750f2a, v26
	v_mul_f32_e32 v31, 0x3eedf032, v26
	v_add_f32_e32 v88, v24, v28
	v_fmac_f32_e32 v56, 0xbeb58ec6, v63
	v_add_f32_e32 v24, v30, v29
	v_fmamk_f32 v29, v27, 0xbf788fa5, v25
	v_mul_f32_e32 v28, 0x3eedf032, v57
	v_fma_f32 v30, 0xbf788fa5, v27, -v25
	v_add_f32_e32 v87, v56, v33
	v_add_f32_e32 v72, v72, v76
	;; [unrolled: 1-line block ×3, first 2 shown]
	v_fmamk_f32 v29, v27, 0x3f62ad3f, v31
	v_fma_f32 v33, 0x3f62ad3f, v59, -v28
	v_add_f32_e32 v67, v30, v32
	v_mul_f32_e32 v30, 0xbf29c268, v57
	v_fmac_f32_e32 v28, 0x3f62ad3f, v59
	v_fma_f32 v31, 0x3f62ad3f, v27, -v31
	v_add_f32_e32 v69, v29, v35
	v_mul_f32_e32 v29, 0xbf29c268, v26
	v_fma_f32 v32, 0xbf3f9e67, v59, -v30
	v_add_f32_e32 v70, v28, v34
	v_add_f32_e32 v71, v31, v37
	v_mul_f32_e32 v28, 0x3f52af12, v57
	v_fmamk_f32 v31, v27, 0xbf3f9e67, v29
	v_add_f32_e32 v68, v68, v72
	v_add_f32_e32 v72, v32, v51
	v_fmac_f32_e32 v30, 0xbf3f9e67, v59
	v_fma_f32 v29, 0xbf3f9e67, v27, -v29
	v_fma_f32 v32, 0x3f116cb1, v59, -v28
	v_add_f32_e32 v73, v31, v41
	v_mul_f32_e32 v31, 0x3f52af12, v26
	v_add_f32_e32 v74, v30, v52
	v_add_f32_e32 v75, v29, v40
	;; [unrolled: 1-line block ×3, first 2 shown]
	v_mul_f32_e32 v29, 0xbf6f5d39, v57
	v_fmamk_f32 v30, v27, 0x3f116cb1, v31
	v_mul_f32_e32 v32, 0xbf6f5d39, v26
	v_fmac_f32_e32 v28, 0x3f116cb1, v59
	v_add_f32_e32 v64, v64, v68
	v_add_f32_e32 v68, v33, v44
	v_fma_f32 v33, 0xbeb58ec6, v59, -v29
	v_add_f32_e32 v77, v30, v55
	v_fmamk_f32 v30, v27, 0xbeb58ec6, v32
	v_add_f32_e32 v78, v28, v39
	v_fmac_f32_e32 v29, 0xbeb58ec6, v59
	v_mul_f32_e32 v28, 0x3f7e222b, v26
	v_add_f32_e32 v60, v60, v64
	v_fmac_f32_e32 v61, 0xbf788fa5, v59
	v_add_f32_e32 v81, v30, v42
	v_mul_f32_e32 v89, 0x3f7e222b, v57
	v_fma_f32 v26, 0xbeb58ec6, v27, -v32
	v_add_f32_e32 v82, v29, v53
	v_sub_f32_e32 v53, v3, v49
	v_fmamk_f32 v30, v27, 0x3df6dbef, v28
	v_add_f32_e32 v66, v61, v38
	v_fma_f32 v29, 0x3df6dbef, v59, -v89
	v_add_f32_e32 v83, v26, v54
	v_add_f32_e32 v26, v48, v2
	v_mul_f32_e32 v38, 0xbeedf032, v53
	v_add_f32_e32 v86, v30, v60
	v_sub_f32_e32 v60, v2, v48
	v_sub_f32_e32 v56, v21, v7
	v_fma_f32 v31, 0x3f116cb1, v27, -v31
	v_add_f32_e32 v80, v33, v50
	v_add_f32_e32 v85, v29, v58
	v_fmamk_f32 v30, v26, 0x3f62ad3f, v38
	v_fma_f32 v90, 0x3df6dbef, v27, -v28
	v_add_f32_e32 v29, v49, v3
	v_mul_f32_e32 v50, 0xbeedf032, v60
	v_add_f32_e32 v27, v6, v20
	v_sub_f32_e32 v61, v20, v6
	v_mul_f32_e32 v39, 0xbf52af12, v56
	v_sub_f32_e32 v57, v23, v5
	v_add_f32_e32 v79, v31, v45
	v_add_f32_e32 v31, v30, v0
	v_fma_f32 v32, 0x3f62ad3f, v29, -v50
	v_add_f32_e32 v30, v7, v21
	v_mul_f32_e32 v52, 0xbf52af12, v61
	v_fmamk_f32 v33, v27, 0x3f116cb1, v39
	v_add_f32_e32 v28, v4, v22
	v_mul_f32_e32 v40, 0xbf7e222b, v57
	v_sub_f32_e32 v62, v22, v4
	v_add_f32_e32 v32, v32, v1
	v_fma_f32 v34, 0x3f116cb1, v30, -v52
	v_add_f32_e32 v33, v33, v31
	v_fmamk_f32 v35, v28, 0x3df6dbef, v40
	v_add_f32_e32 v31, v5, v23
	v_mul_f32_e32 v44, 0xbf7e222b, v62
	v_sub_f32_e32 v58, v17, v11
	v_sub_f32_e32 v63, v16, v10
	v_fmac_f32_e32 v89, 0x3df6dbef, v59
	v_add_f32_e32 v34, v34, v32
	v_add_f32_e32 v36, v35, v33
	v_fma_f32 v35, 0x3df6dbef, v31, -v44
	v_add_f32_e32 v32, v10, v16
	v_mul_f32_e32 v41, 0xbf6f5d39, v58
	v_add_f32_e32 v33, v11, v17
	v_mul_f32_e32 v45, 0xbf6f5d39, v63
	v_sub_f32_e32 v59, v19, v9
	v_sub_f32_e32 v64, v18, v8
	v_add_f32_e32 v37, v35, v34
	v_fmamk_f32 v43, v32, 0xbeb58ec6, v41
	v_fma_f32 v54, 0xbeb58ec6, v33, -v45
	v_add_f32_e32 v34, v8, v18
	v_mul_f32_e32 v42, 0xbf29c268, v59
	v_add_f32_e32 v35, v9, v19
	v_mul_f32_e32 v51, 0xbf29c268, v64
	v_sub_f32_e32 v55, v13, v15
	v_sub_f32_e32 v65, v12, v14
	v_add_f32_e32 v91, v43, v36
	v_add_f32_e32 v92, v54, v37
	v_fmamk_f32 v93, v34, 0xbf3f9e67, v42
	v_fma_f32 v94, 0xbf3f9e67, v35, -v51
	v_add_f32_e32 v36, v14, v12
	v_add_f32_e32 v37, v15, v13
	v_mul_f32_e32 v43, 0xbe750f2a, v55
	v_mul_lo_u16 v95, v206, 13
	v_mul_f32_e32 v54, 0xbe750f2a, v65
	v_add_f32_e32 v91, v93, v91
	v_add_f32_e32 v92, v94, v92
	v_fmamk_f32 v93, v36, 0xbf788fa5, v43
	v_and_b32_e32 v94, 0xffff, v95
	v_fma_f32 v95, 0xbf788fa5, v37, -v54
	v_add_f32_e32 v87, v89, v87
	v_add_f32_e32 v88, v90, v88
	;; [unrolled: 1-line block ×3, first 2 shown]
	v_lshl_add_u32 v218, v94, 3, v161
	v_add_f32_e32 v200, v95, v92
	v_mul_u32_u24_e32 v160, 13, v84
	s_barrier
	buffer_gl0_inv
	ds_write2_b64 v218, v[46:47], v[24:25] offset1:1
	ds_write2_b64 v218, v[68:69], v[72:73] offset0:2 offset1:3
	ds_write2_b64 v218, v[76:77], v[80:81] offset0:4 offset1:5
	;; [unrolled: 1-line block ×5, first 2 shown]
	ds_write_b64 v218, v[66:67] offset:96
	s_and_saveexec_b32 s0, vcc_lo
	s_cbranch_execz .LBB0_7
; %bb.6:
	v_mul_f32_e32 v68, 0xbe750f2a, v60
	v_mul_f32_e32 v72, 0x3eedf032, v61
	;; [unrolled: 1-line block ×5, first 2 shown]
	v_fmamk_f32 v24, v29, 0xbf788fa5, v68
	v_fmamk_f32 v25, v30, 0x3f62ad3f, v72
	;; [unrolled: 1-line block ×3, first 2 shown]
	v_mul_f32_e32 v83, 0xbf6f5d39, v64
	v_mul_f32_e32 v86, 0x3eedf032, v56
	v_add_f32_e32 v24, v24, v1
	v_mul_f32_e32 v88, 0xbf29c268, v57
	v_add_f32_e32 v3, v3, v1
	v_add_f32_e32 v2, v2, v0
	v_fma_f32 v47, 0x3f62ad3f, v27, -v86
	v_add_f32_e32 v24, v25, v24
	v_fmamk_f32 v25, v33, 0x3f116cb1, v79
	v_mul_f32_e32 v90, 0xbf29c268, v60
	v_mul_f32_e32 v91, 0x3f52af12, v58
	;; [unrolled: 1-line block ×3, first 2 shown]
	v_add_f32_e32 v24, v46, v24
	v_fma_f32 v46, 0xbf788fa5, v26, -v82
	v_add_f32_e32 v3, v21, v3
	v_add_f32_e32 v2, v20, v2
	v_mul_f32_e32 v89, 0x3f7e222b, v65
	v_add_f32_e32 v24, v25, v24
	v_fmamk_f32 v25, v35, 0xbeb58ec6, v83
	v_add_f32_e32 v46, v46, v0
	v_fmamk_f32 v66, v29, 0xbf3f9e67, v90
	v_mul_f32_e32 v92, 0x3f7e222b, v61
	v_mul_f32_e32 v93, 0xbf6f5d39, v59
	v_add_f32_e32 v24, v25, v24
	v_add_f32_e32 v25, v47, v46
	v_fma_f32 v46, 0xbf3f9e67, v28, -v88
	v_mul_f32_e32 v73, 0x3f116cb1, v30
	v_add_f32_e32 v50, v50, v70
	v_add_f32_e32 v3, v23, v3
	;; [unrolled: 1-line block ×4, first 2 shown]
	v_fma_f32 v46, 0x3f116cb1, v32, -v91
	v_fmamk_f32 v47, v37, 0x3df6dbef, v89
	v_add_f32_e32 v66, v66, v1
	v_fmamk_f32 v67, v30, 0x3df6dbef, v92
	v_mul_f32_e32 v94, 0xbf52af12, v62
	v_add_f32_e32 v46, v46, v25
	v_fma_f32 v95, 0xbeb58ec6, v34, -v93
	v_mul_f32_e32 v76, 0x3df6dbef, v31
	v_add_f32_e32 v50, v50, v1
	v_add_f32_e32 v52, v52, v73
	;; [unrolled: 1-line block ×6, first 2 shown]
	v_fmamk_f32 v47, v31, 0x3f116cb1, v94
	v_mul_f32_e32 v96, 0x3e750f2a, v63
	v_add_f32_e32 v46, v95, v46
	v_mul_f32_e32 v95, 0x3f7e222b, v55
	v_mul_f32_e32 v97, 0xbf29c268, v53
	;; [unrolled: 1-line block ×4, first 2 shown]
	v_add_f32_e32 v50, v52, v50
	v_add_f32_e32 v44, v44, v76
	;; [unrolled: 1-line block ×5, first 2 shown]
	v_fmamk_f32 v47, v33, 0xbf788fa5, v96
	v_mul_f32_e32 v98, 0x3eedf032, v64
	v_fma_f32 v66, 0x3df6dbef, v36, -v95
	v_fma_f32 v67, 0xbf3f9e67, v26, -v97
	v_mul_f32_e32 v99, 0x3f7e222b, v56
	v_mul_f32_e32 v71, 0x3f116cb1, v27
	v_add_f32_e32 v44, v44, v50
	v_add_f32_e32 v22, v45, v78
	v_sub_f32_e32 v38, v69, v38
	v_add_f32_e32 v3, v13, v3
	v_add_f32_e32 v2, v12, v2
	v_add_f32_e32 v47, v47, v24
	v_fmamk_f32 v100, v35, 0x3f62ad3f, v98
	v_add_f32_e32 v24, v66, v46
	v_add_f32_e32 v46, v67, v0
	v_fma_f32 v66, 0x3df6dbef, v27, -v99
	v_mul_f32_e32 v101, 0xbf52af12, v57
	v_mul_f32_e32 v102, 0xbf6f5d39, v60
	;; [unrolled: 1-line block ×3, first 2 shown]
	v_add_f32_e32 v16, v22, v44
	v_add_f32_e32 v22, v38, v0
	v_sub_f32_e32 v18, v71, v39
	v_add_f32_e32 v3, v15, v3
	v_add_f32_e32 v2, v14, v2
	v_fma_f32 v14, 0xbf788fa5, v29, -v68
	v_add_f32_e32 v47, v100, v47
	v_mul_f32_e32 v100, 0xbf6f5d39, v65
	v_add_f32_e32 v46, v66, v46
	v_fma_f32 v66, 0x3f116cb1, v28, -v101
	v_mul_f32_e32 v103, 0x3e750f2a, v58
	v_fmamk_f32 v104, v29, 0xbeb58ec6, v102
	v_mul_f32_e32 v105, 0x3f29c268, v61
	v_mul_f32_e32 v77, 0xbeb58ec6, v32
	v_add_f32_e32 v12, v18, v22
	v_sub_f32_e32 v13, v74, v40
	v_add_f32_e32 v3, v9, v3
	v_add_f32_e32 v2, v8, v2
	;; [unrolled: 1-line block ×3, first 2 shown]
	v_fma_f32 v9, 0x3f62ad3f, v30, -v72
	v_fmamk_f32 v67, v37, 0xbeb58ec6, v100
	v_add_f32_e32 v46, v66, v46
	v_fma_f32 v66, 0xbf788fa5, v32, -v103
	v_mul_f32_e32 v106, 0x3eedf032, v59
	v_add_f32_e32 v104, v104, v1
	v_fmamk_f32 v107, v30, 0xbf3f9e67, v105
	v_mul_f32_e32 v108, 0x3eedf032, v62
	v_mul_f32_e32 v80, 0xbf3f9e67, v34
	v_add_f32_e32 v12, v13, v12
	v_sub_f32_e32 v13, v77, v41
	v_add_f32_e32 v3, v11, v3
	v_add_f32_e32 v2, v10, v2
	;; [unrolled: 1-line block ×3, first 2 shown]
	v_fma_f32 v9, 0xbf3f9e67, v31, -v75
	v_add_f32_e32 v46, v66, v46
	v_fma_f32 v66, 0x3f62ad3f, v34, -v106
	v_add_f32_e32 v47, v67, v47
	v_add_f32_e32 v67, v107, v104
	v_fmamk_f32 v104, v31, 0x3f62ad3f, v108
	v_mul_f32_e32 v107, 0xbf7e222b, v63
	v_mul_f32_e32 v109, 0xbf6f5d39, v55
	;; [unrolled: 1-line block ×4, first 2 shown]
	v_add_f32_e32 v12, v13, v12
	v_sub_f32_e32 v13, v80, v42
	v_add_f32_e32 v5, v5, v3
	v_add_f32_e32 v4, v4, v2
	;; [unrolled: 1-line block ×3, first 2 shown]
	v_fma_f32 v9, 0x3f116cb1, v33, -v79
	v_add_f32_e32 v46, v66, v46
	v_add_f32_e32 v66, v104, v67
	v_fmamk_f32 v67, v33, 0x3df6dbef, v107
	v_mul_f32_e32 v104, 0x3e750f2a, v64
	v_fma_f32 v111, 0xbeb58ec6, v36, -v109
	v_fma_f32 v112, 0xbeb58ec6, v26, -v110
	v_mul_f32_e32 v113, 0x3f29c268, v56
	v_add_f32_e32 v10, v13, v12
	v_sub_f32_e32 v11, v85, v43
	v_add_f32_e32 v5, v7, v5
	v_add_f32_e32 v4, v6, v4
	;; [unrolled: 1-line block ×3, first 2 shown]
	v_fma_f32 v7, 0xbeb58ec6, v35, -v83
	v_fmac_f32_e32 v82, 0xbf788fa5, v26
	v_fma_f32 v8, 0xbf3f9e67, v29, -v90
	v_add_f32_e32 v66, v67, v66
	v_fmamk_f32 v67, v35, 0xbf788fa5, v104
	v_add_f32_e32 v46, v111, v46
	v_add_f32_e32 v111, v112, v0
	v_fma_f32 v112, 0xbf3f9e67, v27, -v113
	v_mul_f32_e32 v114, 0x3eedf032, v57
	v_mul_f32_e32 v116, 0xbf7e222b, v60
	v_add_f32_e32 v2, v11, v10
	v_add_f32_e32 v6, v7, v6
	v_fma_f32 v7, 0x3df6dbef, v37, -v89
	v_add_f32_e32 v9, v82, v0
	v_fmac_f32_e32 v86, 0x3f62ad3f, v27
	v_add_f32_e32 v8, v8, v1
	v_fma_f32 v10, 0x3df6dbef, v30, -v92
	v_fmac_f32_e32 v97, 0xbf3f9e67, v26
	v_add_f32_e32 v66, v67, v66
	v_mul_f32_e32 v115, 0x3f52af12, v65
	v_add_f32_e32 v67, v112, v111
	v_fma_f32 v111, 0x3f62ad3f, v28, -v114
	v_mul_f32_e32 v112, 0xbf7e222b, v58
	v_fmamk_f32 v118, v29, 0x3df6dbef, v116
	v_mul_f32_e32 v119, 0xbe750f2a, v61
	v_add_f32_e32 v7, v7, v6
	v_add_f32_e32 v6, v86, v9
	v_add_f32_e32 v8, v10, v8
	v_fma_f32 v9, 0x3f116cb1, v31, -v94
	v_add_f32_e32 v10, v97, v0
	v_fmac_f32_e32 v99, 0x3df6dbef, v27
	v_fmamk_f32 v117, v37, 0x3f116cb1, v115
	v_add_f32_e32 v67, v111, v67
	v_fma_f32 v111, 0x3df6dbef, v32, -v112
	v_mul_f32_e32 v120, 0x3e750f2a, v59
	v_add_f32_e32 v118, v118, v1
	v_fmamk_f32 v121, v30, 0xbf788fa5, v119
	v_mul_f32_e32 v122, 0x3f6f5d39, v62
	v_add_f32_e32 v8, v9, v8
	v_fma_f32 v9, 0xbf788fa5, v33, -v96
	v_add_f32_e32 v10, v99, v10
	v_fmac_f32_e32 v101, 0x3f116cb1, v28
	v_add_f32_e32 v111, v111, v67
	v_fma_f32 v123, 0xbf788fa5, v34, -v120
	v_add_f32_e32 v67, v117, v66
	v_add_f32_e32 v66, v121, v118
	v_fmamk_f32 v117, v31, 0xbeb58ec6, v122
	v_mul_f32_e32 v118, 0x3eedf032, v63
	v_add_f32_e32 v8, v9, v8
	v_fma_f32 v9, 0x3f62ad3f, v35, -v98
	v_add_f32_e32 v10, v101, v10
	v_fmac_f32_e32 v103, 0xbf788fa5, v32
	v_add_f32_e32 v111, v123, v111
	v_mul_f32_e32 v121, 0xbf7e222b, v53
	v_mul_f32_e32 v123, 0x3f52af12, v55
	v_add_f32_e32 v66, v117, v66
	v_fmamk_f32 v117, v33, 0x3f62ad3f, v118
	v_mul_f32_e32 v124, 0xbf52af12, v64
	v_add_f32_e32 v8, v9, v8
	v_fma_f32 v9, 0xbeb58ec6, v37, -v100
	v_add_f32_e32 v10, v103, v10
	v_fmac_f32_e32 v106, 0x3f62ad3f, v34
	v_fma_f32 v11, 0xbeb58ec6, v29, -v102
	v_fmac_f32_e32 v110, 0xbeb58ec6, v26
	v_fma_f32 v125, 0x3df6dbef, v26, -v121
	v_mul_f32_e32 v126, 0xbe750f2a, v56
	v_fma_f32 v127, 0x3f116cb1, v36, -v123
	v_add_f32_e32 v117, v117, v66
	v_fmamk_f32 v128, v35, 0x3f116cb1, v124
	v_add_f32_e32 v9, v9, v8
	v_add_f32_e32 v8, v106, v10
	;; [unrolled: 1-line block ×3, first 2 shown]
	v_fma_f32 v11, 0xbf3f9e67, v30, -v105
	v_add_f32_e32 v12, v110, v0
	v_fmac_f32_e32 v113, 0xbf3f9e67, v27
	v_fma_f32 v13, 0x3df6dbef, v29, -v116
	v_add_f32_e32 v125, v125, v0
	v_fma_f32 v129, 0xbf788fa5, v27, -v126
	v_mul_f32_e32 v130, 0x3f6f5d39, v57
	v_add_f32_e32 v66, v127, v111
	v_add_f32_e32 v111, v128, v117
	v_mul_f32_e32 v117, 0xbf52af12, v60
	v_add_f32_e32 v10, v11, v10
	v_fma_f32 v11, 0x3f62ad3f, v31, -v108
	v_add_f32_e32 v12, v113, v12
	v_fmac_f32_e32 v114, 0x3f62ad3f, v28
	v_add_f32_e32 v13, v13, v1
	v_fma_f32 v14, 0xbf788fa5, v30, -v119
	v_add_f32_e32 v60, v129, v125
	v_fma_f32 v125, 0xbeb58ec6, v28, -v130
	v_mul_f32_e32 v127, 0x3eedf032, v58
	v_mul_f32_e32 v128, 0xbf29c268, v65
	v_fmamk_f32 v129, v29, 0x3f116cb1, v117
	v_mul_f32_e32 v131, 0xbf6f5d39, v61
	v_add_f32_e32 v10, v11, v10
	v_fma_f32 v11, 0x3df6dbef, v33, -v107
	v_add_f32_e32 v12, v114, v12
	v_fmac_f32_e32 v112, 0x3df6dbef, v32
	v_add_f32_e32 v13, v14, v13
	v_fma_f32 v14, 0xbeb58ec6, v31, -v122
	v_add_f32_e32 v60, v125, v60
	v_fma_f32 v61, 0x3f62ad3f, v32, -v127
	v_mul_f32_e32 v125, 0xbf52af12, v59
	v_add_f32_e32 v129, v129, v1
	v_fmamk_f32 v132, v30, 0xbeb58ec6, v131
	v_mul_f32_e32 v62, 0xbe750f2a, v62
	v_fmamk_f32 v133, v37, 0xbf3f9e67, v128
	v_add_f32_e32 v10, v11, v10
	v_fma_f32 v11, 0xbf788fa5, v35, -v104
	v_add_f32_e32 v12, v112, v12
	v_fmac_f32_e32 v120, 0xbf788fa5, v34
	v_add_f32_e32 v13, v14, v13
	v_fma_f32 v14, 0x3f62ad3f, v33, -v118
	v_add_f32_e32 v60, v61, v60
	v_fma_f32 v134, 0x3f116cb1, v34, -v125
	v_add_f32_e32 v129, v132, v129
	v_fmamk_f32 v132, v31, 0xbf788fa5, v62
	v_add_f32_e32 v61, v133, v111
	v_mul_f32_e32 v111, 0xbf52af12, v53
	v_add_f32_e32 v10, v11, v10
	v_fma_f32 v11, 0x3f116cb1, v37, -v115
	v_add_f32_e32 v12, v120, v12
	v_fmac_f32_e32 v123, 0x3f116cb1, v36
	v_add_f32_e32 v13, v14, v13
	v_fma_f32 v14, 0x3f116cb1, v35, -v124
	v_add_f32_e32 v53, v134, v60
	v_add_f32_e32 v60, v132, v129
	v_fma_f32 v132, 0x3f116cb1, v26, -v111
	v_mul_f32_e32 v56, 0xbf6f5d39, v56
	v_add_f32_e32 v11, v11, v10
	v_add_f32_e32 v10, v123, v12
	v_fmac_f32_e32 v121, 0x3df6dbef, v26
	v_add_f32_e32 v12, v14, v13
	v_fma_f32 v13, 0x3f116cb1, v29, -v117
	v_fmac_f32_e32 v111, 0x3f116cb1, v26
	v_add_f32_e32 v132, v132, v0
	v_fma_f32 v134, 0xbeb58ec6, v27, -v56
	v_mul_f32_e32 v57, 0xbe750f2a, v57
	v_add_f32_e32 v15, v121, v0
	v_fmac_f32_e32 v126, 0xbf788fa5, v27
	v_add_f32_e32 v1, v13, v1
	v_fma_f32 v13, 0xbeb58ec6, v30, -v131
	v_add_f32_e32 v0, v111, v0
	v_fmac_f32_e32 v56, 0xbeb58ec6, v27
	v_mul_f32_e32 v63, 0x3f29c268, v63
	v_add_f32_e32 v132, v134, v132
	v_fma_f32 v134, 0xbf788fa5, v28, -v57
	v_mul_f32_e32 v58, 0x3f29c268, v58
	v_fmac_f32_e32 v88, 0xbf3f9e67, v28
	v_mul_f32_e32 v81, 0xbf3f9e67, v35
	v_add_f32_e32 v15, v126, v15
	v_fmac_f32_e32 v130, 0xbeb58ec6, v28
	v_add_f32_e32 v1, v13, v1
	v_fma_f32 v13, 0xbf788fa5, v31, -v62
	v_add_f32_e32 v0, v56, v0
	v_fmac_f32_e32 v57, 0xbf788fa5, v28
	v_fmamk_f32 v129, v33, 0xbf3f9e67, v63
	v_mul_f32_e32 v64, 0x3f7e222b, v64
	v_add_f32_e32 v70, v134, v132
	v_fma_f32 v132, 0xbf3f9e67, v32, -v58
	v_mul_f32_e32 v59, 0x3f7e222b, v59
	v_add_f32_e32 v6, v88, v6
	v_fmac_f32_e32 v91, 0x3f116cb1, v32
	v_mul_f32_e32 v87, 0xbf788fa5, v37
	v_add_f32_e32 v17, v51, v81
	v_add_f32_e32 v15, v130, v15
	v_fmac_f32_e32 v127, 0x3f62ad3f, v32
	v_add_f32_e32 v1, v13, v1
	v_fma_f32 v13, 0xbf3f9e67, v33, -v63
	v_add_f32_e32 v0, v57, v0
	v_fmac_f32_e32 v58, 0xbf3f9e67, v32
	v_mul_f32_e32 v133, 0xbf29c268, v55
	v_add_f32_e32 v60, v129, v60
	v_fmamk_f32 v129, v35, 0x3df6dbef, v64
	v_mul_f32_e32 v65, 0x3eedf032, v65
	v_add_f32_e32 v70, v132, v70
	v_fma_f32 v73, 0x3df6dbef, v34, -v59
	v_mul_f32_e32 v21, 0x3eedf032, v55
	v_add_f32_e32 v6, v91, v6
	v_fmac_f32_e32 v93, 0xbeb58ec6, v34
	v_add_f32_e32 v16, v17, v16
	v_add_f32_e32 v17, v54, v87
	;; [unrolled: 1-line block ×3, first 2 shown]
	v_fmac_f32_e32 v125, 0x3f116cb1, v34
	v_add_f32_e32 v1, v13, v1
	v_fma_f32 v13, 0x3df6dbef, v35, -v64
	v_add_f32_e32 v0, v58, v0
	v_fmac_f32_e32 v59, 0x3df6dbef, v34
	v_fma_f32 v135, 0xbf3f9e67, v36, -v133
	v_add_f32_e32 v129, v129, v60
	v_fmamk_f32 v136, v37, 0x3f62ad3f, v65
	v_add_f32_e32 v20, v73, v70
	v_fma_f32 v23, 0x3f62ad3f, v36, -v21
	v_add_f32_e32 v6, v93, v6
	v_fmac_f32_e32 v95, 0x3df6dbef, v36
	v_fmac_f32_e32 v109, 0xbeb58ec6, v36
	v_add_f32_e32 v3, v17, v16
	v_add_f32_e32 v5, v49, v5
	v_add_f32_e32 v4, v48, v4
	v_fma_f32 v14, 0xbf3f9e67, v37, -v128
	v_add_f32_e32 v15, v125, v15
	v_fmac_f32_e32 v133, 0xbf3f9e67, v36
	v_add_f32_e32 v13, v13, v1
	v_fma_f32 v16, 0x3f62ad3f, v37, -v65
	v_add_f32_e32 v17, v59, v0
	v_fmac_f32_e32 v21, 0x3f62ad3f, v36
	v_lshl_add_u32 v18, v160, 3, v161
	v_add_f32_e32 v60, v135, v53
	v_add_f32_e32 v53, v136, v129
	;; [unrolled: 1-line block ×9, first 2 shown]
	ds_write2_b64 v18, v[4:5], v[2:3] offset1:1
	ds_write2_b64 v18, v[52:53], v[60:61] offset0:2 offset1:3
	ds_write2_b64 v18, v[66:67], v[46:47] offset0:4 offset1:5
	;; [unrolled: 1-line block ×5, first 2 shown]
	ds_write_b64 v18, v[199:200] offset:96
.LBB0_7:
	s_or_b32 exec_lo, exec_lo, s0
	v_and_b32_e32 v0, 0xff, v206
	v_and_b32_e32 v1, 0xff, v84
	v_mov_b32_e32 v2, 5
	v_add_co_u32 v86, null, 0x82, v206
	v_mul_lo_u16 v0, 0x4f, v0
	s_waitcnt lgkmcnt(0)
	s_barrier
	v_and_b32_e32 v52, 0xff, v86
	buffer_gl0_inv
	v_lshrrev_b16 v54, 10, v0
	v_mul_lo_u16 v0, 0x4f, v1
	v_add_co_u32 v85, null, 0xc3, v206
	v_mul_lo_u16 v3, 0x4f, v52
	v_mul_lo_u16 v1, v54, 13
	v_lshrrev_b16 v53, 10, v0
	v_add_co_u32 v88, null, 0x104, v206
	v_lshrrev_b16 v59, 10, v3
	v_sub_nc_u16 v55, v206, v1
	v_mul_lo_u16 v0, v53, 13
	v_add_nc_u32_e32 v118, 0x800, v205
	v_add_nc_u32_e32 v116, 0x1000, v205
	;; [unrolled: 1-line block ×3, first 2 shown]
	v_lshlrev_b32_sdwa v1, v2, v55 dst_sel:DWORD dst_unused:UNUSED_PAD src0_sel:DWORD src1_sel:BYTE_0
	v_sub_nc_u16 v56, v84, v0
	v_add_nc_u32_e32 v119, 0x2800, v205
	v_add_nc_u32_e32 v120, 0x2000, v205
	v_lshlrev_b32_e32 v84, 5, v84
	s_clause 0x1
	global_load_dwordx4 v[4:7], v1, s[4:5] offset:16
	global_load_dwordx4 v[16:19], v1, s[4:5]
	v_mov_b32_e32 v1, 0x4ec5
	v_lshlrev_b32_sdwa v0, v2, v56 dst_sel:DWORD dst_unused:UNUSED_PAD src0_sel:DWORD src1_sel:BYTE_0
	v_lshl_add_u32 v207, v206, 3, v161
	v_mul_u32_u24_sdwa v8, v85, v1 dst_sel:DWORD dst_unused:UNUSED_PAD src0_sel:WORD_0 src1_sel:DWORD
	v_mul_u32_u24_sdwa v1, v88, v1 dst_sel:DWORD dst_unused:UNUSED_PAD src0_sel:WORD_0 src1_sel:DWORD
	s_clause 0x1
	global_load_dwordx4 v[28:31], v0, s[4:5]
	global_load_dwordx4 v[24:27], v0, s[4:5] offset:16
	v_mul_lo_u16 v0, v59, 13
	v_lshrrev_b32_e32 v57, 18, v8
	v_lshrrev_b32_e32 v58, 18, v1
	v_sub_nc_u16 v61, v86, v0
	v_mul_lo_u16 v3, v57, 13
	v_mul_lo_u16 v1, v58, 13
	v_lshlrev_b32_sdwa v0, v2, v61 dst_sel:DWORD dst_unused:UNUSED_PAD src0_sel:DWORD src1_sel:BYTE_0
	v_sub_nc_u16 v62, v85, v3
	v_sub_nc_u16 v60, v88, v1
	v_mov_b32_e32 v2, 3
	s_clause 0x1
	global_load_dwordx4 v[36:39], v0, s[4:5]
	global_load_dwordx4 v[32:35], v0, s[4:5] offset:16
	v_lshlrev_b16 v3, 2, v62
	v_lshlrev_b16 v0, 2, v60
	v_lshlrev_b32_sdwa v1, v2, v3 dst_sel:DWORD dst_unused:UNUSED_PAD src0_sel:DWORD src1_sel:WORD_0
	v_lshlrev_b32_sdwa v0, v2, v0 dst_sel:DWORD dst_unused:UNUSED_PAD src0_sel:DWORD src1_sel:WORD_0
	s_clause 0x3
	global_load_dwordx4 v[20:23], v1, s[4:5]
	global_load_dwordx4 v[12:15], v1, s[4:5] offset:16
	global_load_dwordx4 v[8:11], v0, s[4:5]
	global_load_dwordx4 v[0:3], v0, s[4:5] offset:16
	ds_read2_b64 v[40:43], v118 offset0:4 offset1:69
	ds_read2_b64 v[63:66], v116 offset0:138 offset1:203
	;; [unrolled: 1-line block ×6, first 2 shown]
	ds_read2_b64 v[48:51], v205 offset1:65
	ds_read2_b64 v[44:47], v205 offset0:130 offset1:195
	ds_read_b64 v[105:106], v205 offset:12480
	ds_read2_b64 v[89:92], v117 offset0:12 offset1:77
	ds_read2_b64 v[93:96], v119 offset0:150 offset1:215
	;; [unrolled: 1-line block ×4, first 2 shown]
	s_waitcnt vmcnt(9) lgkmcnt(10)
	v_mul_f32_e32 v110, v70, v5
	s_waitcnt vmcnt(8)
	v_mul_f32_e32 v107, v64, v19
	v_mul_f32_e32 v87, v42, v17
	;; [unrolled: 1-line block ×4, first 2 shown]
	s_waitcnt lgkmcnt(9)
	v_mul_f32_e32 v112, v72, v7
	v_fma_f32 v107, v63, v18, -v107
	v_fmac_f32_e32 v110, v71, v4
	v_mul_f32_e32 v67, v43, v17
	s_waitcnt vmcnt(7)
	v_mul_f32_e32 v115, v66, v31
	v_mul_f32_e32 v121, v65, v31
	;; [unrolled: 1-line block ×3, first 2 shown]
	v_fmac_f32_e32 v87, v43, v16
	v_fmac_f32_e32 v108, v64, v18
	v_fma_f32 v71, v65, v30, -v115
	v_fmac_f32_e32 v121, v66, v30
	v_fmac_f32_e32 v112, v73, v6
	s_waitcnt lgkmcnt(8)
	v_mul_f32_e32 v113, v77, v29
	v_mul_f32_e32 v114, v76, v29
	s_waitcnt vmcnt(6) lgkmcnt(7)
	v_mul_f32_e32 v122, v81, v25
	v_mul_f32_e32 v123, v80, v25
	;; [unrolled: 1-line block ×4, first 2 shown]
	v_fma_f32 v126, v42, v16, -v67
	v_fma_f32 v109, v70, v4, -v109
	v_fma_f32 v111, v72, v6, -v111
	s_waitcnt vmcnt(5)
	v_mul_f32_e32 v65, v79, v37
	s_waitcnt lgkmcnt(3)
	v_mul_f32_e32 v66, v90, v39
	v_mul_f32_e32 v73, v78, v37
	;; [unrolled: 1-line block ×3, first 2 shown]
	v_fma_f32 v70, v76, v28, -v113
	v_fma_f32 v78, v78, v36, -v65
	;; [unrolled: 1-line block ×3, first 2 shown]
	v_fmac_f32_e32 v114, v77, v28
	v_fma_f32 v77, v80, v24, -v122
	v_fmac_f32_e32 v123, v81, v24
	s_waitcnt vmcnt(4)
	v_mul_f32_e32 v67, v83, v33
	v_mul_f32_e32 v122, v82, v33
	s_waitcnt vmcnt(1)
	v_mul_f32_e32 v131, v69, v11
	s_waitcnt vmcnt(0) lgkmcnt(0)
	v_mul_f32_e32 v132, v104, v1
	v_mul_f32_e32 v63, v103, v1
	;; [unrolled: 1-line block ×5, first 2 shown]
	v_fma_f32 v65, v68, v10, -v131
	v_fma_f32 v66, v103, v0, -v132
	v_fmac_f32_e32 v63, v104, v0
	v_fma_f32 v68, v105, v2, -v133
	buffer_store_dword v0, off, s[16:19], 0 offset:24 ; 4-byte Folded Spill
	buffer_store_dword v1, off, s[16:19], 0 offset:28 ; 4-byte Folded Spill
	;; [unrolled: 1-line block ×4, first 2 shown]
	v_mul_f32_e32 v72, v94, v35
	v_mul_f32_e32 v76, v92, v23
	;; [unrolled: 1-line block ×4, first 2 shown]
	v_fma_f32 v113, v74, v26, -v124
	v_fmac_f32_e32 v125, v75, v26
	v_mul_f32_e32 v124, v93, v35
	v_mul_f32_e32 v74, v98, v21
	;; [unrolled: 1-line block ×6, first 2 shown]
	v_fmac_f32_e32 v73, v79, v36
	v_fmac_f32_e32 v115, v90, v38
	v_fma_f32 v134, v82, v32, -v67
	v_fmac_f32_e32 v122, v83, v32
	v_fma_f32 v83, v93, v34, -v72
	v_fma_f32 v90, v91, v22, -v76
	v_fmac_f32_e32 v128, v102, v12
	v_fma_f32 v135, v95, v14, -v81
	v_fmac_f32_e32 v43, v69, v10
	v_add_f32_e32 v69, v48, v126
	v_sub_f32_e32 v76, v126, v107
	v_sub_f32_e32 v79, v111, v109
	;; [unrolled: 1-line block ×4, first 2 shown]
	v_add_f32_e32 v91, v49, v87
	v_add_f32_e32 v93, v108, v110
	;; [unrolled: 1-line block ×4, first 2 shown]
	v_mul_f32_e32 v75, v97, v21
	v_mul_f32_e32 v129, v95, v15
	v_fma_f32 v74, v97, v20, -v74
	v_fma_f32 v67, v99, v8, -v130
	v_fmac_f32_e32 v42, v100, v8
	v_add_f32_e32 v72, v107, v109
	v_sub_f32_e32 v97, v107, v109
	v_sub_f32_e32 v104, v114, v125
	v_add_f32_e32 v130, v70, v113
	v_sub_f32_e32 v131, v71, v70
	v_sub_f32_e32 v137, v70, v113
	;; [unrolled: 1-line block ×3, first 2 shown]
	v_add_f32_e32 v107, v69, v107
	v_add_f32_e32 v143, v76, v79
	;; [unrolled: 1-line block ×6, first 2 shown]
	v_sub_f32_e32 v91, v78, v89
	v_add_f32_e32 v204, v65, v66
	v_fmac_f32_e32 v124, v94, v34
	v_fmac_f32_e32 v75, v98, v20
	;; [unrolled: 1-line block ×3, first 2 shown]
	v_fma_f32 v92, v101, v12, -v80
	v_fmac_f32_e32 v129, v96, v14
	v_sub_f32_e32 v94, v87, v112
	v_sub_f32_e32 v95, v108, v110
	v_add_f32_e32 v80, v126, v111
	v_sub_f32_e32 v96, v126, v111
	v_sub_f32_e32 v98, v87, v108
	;; [unrolled: 1-line block ×3, first 2 shown]
	v_add_f32_e32 v100, v87, v112
	v_sub_f32_e32 v87, v108, v87
	v_sub_f32_e32 v101, v110, v112
	;; [unrolled: 1-line block ×5, first 2 shown]
	v_add_f32_e32 v133, v51, v114
	v_sub_f32_e32 v139, v114, v121
	v_add_f32_e32 v141, v114, v125
	v_sub_f32_e32 v114, v121, v114
	v_sub_f32_e32 v142, v123, v125
	v_add_f32_e32 v107, v107, v109
	v_add_f32_e32 v109, v76, v110
	;; [unrolled: 1-line block ×4, first 2 shown]
	v_fma_f32 v69, -0.5, v72, v48
	v_fma_f32 v48, -0.5, v80, v48
	v_add_f32_e32 v108, v98, v99
	v_add_f32_e32 v87, v87, v101
	;; [unrolled: 1-line block ×7, first 2 shown]
	v_sub_f32_e32 v210, v43, v63
	v_sub_f32_e32 v211, v67, v65
	v_sub_f32_e32 v212, v68, v66
	v_add_f32_e32 v136, v121, v123
	v_sub_f32_e32 v140, v125, v123
	v_sub_f32_e32 v146, v75, v129
	;; [unrolled: 1-line block ×3, first 2 shown]
	v_add_f32_e32 v150, v74, v135
	v_sub_f32_e32 v151, v90, v74
	v_add_f32_e32 v153, v47, v75
	v_sub_f32_e32 v155, v74, v135
	v_sub_f32_e32 v157, v75, v127
	v_add_f32_e32 v159, v75, v129
	v_sub_f32_e32 v201, v127, v75
	v_add_f32_e32 v203, v40, v67
	v_add_f32_e32 v213, v67, v68
	v_fmamk_f32 v75, v95, 0xbf737871, v48
	v_fmac_f32_e32 v48, 0x3f737871, v95
	v_fma_f32 v81, -0.5, v82, v44
	v_fma_f32 v44, -0.5, v98, v44
	v_add_f32_e32 v98, v101, v115
	v_add_f32_e32 v101, v142, v90
	;; [unrolled: 1-line block ×3, first 2 shown]
	v_fma_f32 v72, -0.5, v136, v51
	v_add_f32_e32 v121, v139, v140
	v_fmac_f32_e32 v51, -0.5, v141
	v_add_f32_e32 v139, v73, v124
	v_sub_f32_e32 v140, v115, v73
	v_add_f32_e32 v145, v90, v92
	v_sub_f32_e32 v149, v135, v92
	v_sub_f32_e32 v152, v92, v135
	;; [unrolled: 1-line block ×3, first 2 shown]
	v_add_f32_e32 v142, v203, v65
	v_fmac_f32_e32 v75, 0x3f167918, v94
	v_fmac_f32_e32 v48, 0xbf167918, v94
	v_add_f32_e32 v92, v101, v92
	v_add_f32_e32 v123, v80, v123
	v_fmamk_f32 v80, v138, 0x3f737871, v51
	v_fmac_f32_e32 v51, 0xbf737871, v138
	v_add_f32_e32 v102, v115, v122
	v_add_f32_e32 v154, v127, v128
	v_sub_f32_e32 v99, v89, v78
	v_fmac_f32_e32 v80, 0xbf167918, v137
	v_fmac_f32_e32 v51, 0x3f167918, v137
	v_fma_f32 v82, -0.5, v102, v45
	v_sub_f32_e32 v133, v89, v134
	v_fma_f32 v45, -0.5, v139, v45
	v_fmac_f32_e32 v80, 0x3e9e377a, v114
	v_fmac_f32_e32 v51, 0x3e9e377a, v114
	v_fma_f32 v89, -0.5, v145, v46
	v_add_f32_e32 v102, v153, v127
	v_fma_f32 v90, -0.5, v154, v47
	v_sub_f32_e32 v136, v124, v122
	v_sub_f32_e32 v147, v127, v128
	v_fma_f32 v46, -0.5, v150, v46
	v_fmac_f32_e32 v47, -0.5, v159
	v_fmac_f32_e32 v75, 0x3e9e377a, v144
	v_fmac_f32_e32 v48, 0x3e9e377a, v144
	v_sub_f32_e32 v141, v122, v124
	v_sub_f32_e32 v158, v129, v128
	v_fmamk_f32 v101, v146, 0x3f737871, v89
	v_sub_f32_e32 v202, v128, v129
	v_fmac_f32_e32 v89, 0xbf737871, v146
	s_waitcnt_vscnt null, 0x0
	s_barrier
	buffer_gl0_inv
	v_add_f32_e32 v139, v148, v149
	v_add_f32_e32 v127, v157, v158
	v_fmac_f32_e32 v101, 0x3f167918, v147
	v_fmac_f32_e32 v89, 0xbf167918, v147
	;; [unrolled: 1-line block ×5, first 2 shown]
	v_sub_f32_e32 v106, v70, v71
	v_fma_f32 v70, -0.5, v93, v49
	v_fma_f32 v71, -0.5, v103, v50
	v_sub_f32_e32 v93, v83, v134
	v_fma_f32 v50, -0.5, v130, v50
	v_sub_f32_e32 v209, v42, v64
	v_fma_f32 v49, -0.5, v100, v49
	v_fmamk_f32 v77, v104, 0x3f737871, v71
	v_fmac_f32_e32 v71, 0xbf737871, v104
	v_add_f32_e32 v215, v91, v93
	v_fma_f32 v91, -0.5, v204, v40
	v_fmamk_f32 v79, v105, 0xbf737871, v50
	v_fmac_f32_e32 v50, 0x3f737871, v105
	v_add_f32_e32 v93, v107, v111
	v_fmac_f32_e32 v77, 0x3f167918, v105
	v_fmac_f32_e32 v71, 0xbf167918, v105
	v_add_f32_e32 v107, v214, v134
	v_fmamk_f32 v105, v209, 0x3f737871, v91
	v_fmac_f32_e32 v91, 0xbf737871, v209
	v_add_f32_e32 v106, v106, v126
	v_add_f32_e32 v126, v131, v132
	v_sub_f32_e32 v100, v134, v83
	v_sub_f32_e32 v132, v78, v83
	v_fmamk_f32 v74, v96, 0xbf737871, v70
	v_fmac_f32_e32 v70, 0x3f737871, v96
	v_fmamk_f32 v76, v97, 0x3f737871, v49
	v_fmac_f32_e32 v49, 0xbf737871, v97
	v_add_f32_e32 v107, v107, v83
	v_fmac_f32_e32 v105, 0x3f167918, v210
	v_add_f32_e32 v83, v211, v212
	v_fmac_f32_e32 v91, 0xbf167918, v210
	v_sub_f32_e32 v130, v73, v124
	v_sub_f32_e32 v103, v73, v115
	v_fmamk_f32 v73, v94, 0x3f737871, v69
	v_fmac_f32_e32 v69, 0xbf737871, v94
	v_add_f32_e32 v94, v109, v112
	v_fmac_f32_e32 v74, 0xbf167918, v97
	v_fmac_f32_e32 v70, 0x3f167918, v97
	;; [unrolled: 1-line block ×4, first 2 shown]
	v_add_f32_e32 v109, v98, v122
	v_fma_f32 v40, -0.5, v213, v40
	v_fmac_f32_e32 v105, 0x3e9e377a, v83
	v_fmac_f32_e32 v91, 0x3e9e377a, v83
	v_add_f32_e32 v83, v43, v63
	v_add_f32_e32 v112, v41, v42
	v_fmac_f32_e32 v73, 0x3f167918, v95
	v_fmac_f32_e32 v69, 0xbf167918, v95
	v_add_f32_e32 v95, v110, v113
	v_add_f32_e32 v111, v142, v66
	v_fmac_f32_e32 v74, 0x3e9e377a, v108
	v_fmac_f32_e32 v70, 0x3e9e377a, v108
	;; [unrolled: 1-line block ×6, first 2 shown]
	v_add_f32_e32 v108, v109, v124
	v_add_f32_e32 v109, v92, v135
	v_fmamk_f32 v113, v210, 0xbf737871, v40
	v_sub_f32_e32 v87, v65, v67
	v_sub_f32_e32 v106, v66, v68
	v_fma_f32 v92, -0.5, v83, v41
	v_fmac_f32_e32 v40, 0x3f737871, v210
	v_add_f32_e32 v83, v112, v43
	v_add_f32_e32 v112, v42, v64
	;; [unrolled: 1-line block ×3, first 2 shown]
	v_sub_f32_e32 v67, v67, v68
	v_fmac_f32_e32 v113, 0x3f167918, v209
	v_add_f32_e32 v68, v87, v106
	v_sub_f32_e32 v65, v65, v66
	v_fmac_f32_e32 v40, 0xbf167918, v209
	v_fmac_f32_e32 v41, -0.5, v112
	v_sub_f32_e32 v66, v42, v43
	v_fmac_f32_e32 v113, 0x3e9e377a, v68
	v_sub_f32_e32 v42, v43, v42
	v_fmac_f32_e32 v40, 0x3e9e377a, v68
	v_fmamk_f32 v114, v65, 0x3f737871, v41
	v_mov_b32_e32 v68, 0x41
	v_sub_f32_e32 v43, v63, v64
	v_fmac_f32_e32 v41, 0xbf737871, v65
	v_sub_f32_e32 v131, v115, v122
	v_fmac_f32_e32 v114, 0xbf167918, v67
	v_mul_u32_u24_sdwa v54, v54, v68 dst_sel:DWORD dst_unused:UNUSED_PAD src0_sel:WORD_0 src1_sel:DWORD
	v_add_f32_e32 v42, v42, v43
	v_fmac_f32_e32 v41, 0x3f167918, v67
	v_mul_u32_u24_sdwa v53, v53, v68 dst_sel:DWORD dst_unused:UNUSED_PAD src0_sel:WORD_0 src1_sel:DWORD
	v_fmamk_f32 v97, v130, 0x3f737871, v81
	v_add_nc_u32_sdwa v43, v54, v55 dst_sel:DWORD dst_unused:UNUSED_PAD src0_sel:DWORD src1_sel:BYTE_0
	v_fmac_f32_e32 v114, 0x3e9e377a, v42
	v_fmac_f32_e32 v41, 0x3e9e377a, v42
	v_add_nc_u32_sdwa v42, v53, v56 dst_sel:DWORD dst_unused:UNUSED_PAD src0_sel:DWORD src1_sel:BYTE_0
	v_fmac_f32_e32 v81, 0xbf737871, v130
	v_fmamk_f32 v98, v132, 0xbf737871, v82
	v_fmac_f32_e32 v82, 0x3f737871, v132
	v_lshl_add_u32 v212, v43, 3, v161
	v_mul_u32_u24_sdwa v43, v59, v68 dst_sel:DWORD dst_unused:UNUSED_PAD src0_sel:WORD_0 src1_sel:DWORD
	v_lshl_add_u32 v213, v42, 3, v161
	v_mad_u16 v42, 0x41, v57, v62
	v_fmamk_f32 v78, v137, 0xbf737871, v72
	v_fmac_f32_e32 v72, 0x3f737871, v137
	v_add_f32_e32 v216, v99, v100
	v_fmamk_f32 v99, v131, 0xbf737871, v44
	v_fmac_f32_e32 v44, 0x3f737871, v131
	v_fmamk_f32 v100, v133, 0x3f737871, v45
	v_fmac_f32_e32 v45, 0xbf737871, v133
	v_add_f32_e32 v110, v102, v128
	v_fmamk_f32 v102, v155, 0xbf737871, v90
	v_add_f32_e32 v115, v103, v136
	v_fmac_f32_e32 v79, 0x3f167918, v104
	v_fmac_f32_e32 v50, 0xbf167918, v104
	v_fmamk_f32 v103, v147, 0xbf737871, v46
	v_fmac_f32_e32 v46, 0x3f737871, v147
	v_fmac_f32_e32 v90, 0x3f737871, v155
	v_fmamk_f32 v104, v156, 0x3f737871, v47
	v_fmac_f32_e32 v47, 0xbf737871, v156
	v_fmac_f32_e32 v97, 0x3f167918, v131
	;; [unrolled: 1-line block ×5, first 2 shown]
	ds_write2_b64 v212, v[75:76], v[48:49] offset0:26 offset1:39
	v_add_nc_u32_sdwa v43, v43, v61 dst_sel:DWORD dst_unused:UNUSED_PAD src0_sel:DWORD src1_sel:BYTE_0
	v_and_b32_e32 v42, 0xffff, v42
	v_mad_u16 v48, 0x41, v58, v60
	v_add_f32_e32 v136, v140, v141
	v_fmac_f32_e32 v78, 0xbf167918, v138
	v_fmac_f32_e32 v72, 0x3f167918, v138
	;; [unrolled: 1-line block ×7, first 2 shown]
	v_fmamk_f32 v106, v67, 0xbf737871, v92
	v_sub_f32_e32 v87, v64, v63
	v_add_f32_e32 v140, v151, v152
	v_add_f32_e32 v141, v201, v202
	v_fmac_f32_e32 v73, 0x3e9e377a, v143
	v_fmac_f32_e32 v69, 0x3e9e377a, v143
	;; [unrolled: 1-line block ×13, first 2 shown]
	v_lshl_add_u32 v43, v43, 3, v161
	v_lshl_add_u32 v49, v42, 3, v161
	v_and_b32_e32 v42, 0xffff, v48
	v_add_f32_e32 v96, v123, v125
	v_fmac_f32_e32 v78, 0x3e9e377a, v121
	v_fmac_f32_e32 v72, 0x3e9e377a, v121
	v_add_f32_e32 v110, v110, v129
	v_fmac_f32_e32 v99, 0x3e9e377a, v216
	v_fmac_f32_e32 v44, 0x3e9e377a, v216
	;; [unrolled: 1-line block ×5, first 2 shown]
	v_add_f32_e32 v83, v83, v63
	v_fmac_f32_e32 v106, 0xbf167918, v65
	v_add_f32_e32 v66, v66, v87
	v_fmac_f32_e32 v103, 0x3e9e377a, v140
	v_fmac_f32_e32 v46, 0x3e9e377a, v140
	;; [unrolled: 1-line block ×5, first 2 shown]
	ds_write2_b64 v212, v[93:94], v[73:74] offset1:13
	ds_write_b64 v212, v[69:70] offset:416
	ds_write2_b64 v213, v[95:96], v[77:78] offset1:13
	ds_write2_b64 v213, v[79:80], v[50:51] offset0:26 offset1:39
	ds_write_b64 v213, v[71:72] offset:416
	ds_write2_b64 v43, v[107:108], v[97:98] offset1:13
	ds_write2_b64 v43, v[99:100], v[44:45] offset0:26 offset1:39
	buffer_store_dword v43, off, s[16:19], 0 offset:20 ; 4-byte Folded Spill
	ds_write_b64 v43, v[81:82] offset:416
	ds_write2_b64 v49, v[109:110], v[101:102] offset1:13
	v_lshl_add_u32 v214, v42, 3, v161
	v_mul_lo_u16 v43, 0xfd, v52
	v_add_f32_e32 v112, v83, v64
	v_fmac_f32_e32 v106, 0x3e9e377a, v66
	v_mov_b32_e32 v42, 0xfc1
	v_fmac_f32_e32 v92, 0x3f737871, v67
	ds_write2_b64 v49, v[103:104], v[46:47] offset0:26 offset1:39
	buffer_store_dword v49, off, s[16:19], 0 offset:16 ; 4-byte Folded Spill
	ds_write_b64 v49, v[89:90] offset:416
	ds_write2_b64 v214, v[111:112], v[105:106] offset1:13
	ds_write2_b64 v214, v[113:114], v[40:41] offset0:26 offset1:39
	v_lshrrev_b16 v40, 14, v43
	v_mul_u32_u24_sdwa v44, v85, v42 dst_sel:DWORD dst_unused:UNUSED_PAD src0_sel:WORD_0 src1_sel:DWORD
	v_fmac_f32_e32 v92, 0x3f167918, v65
	v_mul_u32_u24_sdwa v42, v88, v42 dst_sel:DWORD dst_unused:UNUSED_PAD src0_sel:WORD_0 src1_sel:DWORD
	v_lshlrev_b32_e32 v76, 5, v206
	v_mul_lo_u16 v40, 0x41, v40
	v_lshrrev_b32_e32 v41, 18, v44
	v_fmac_f32_e32 v92, 0x3e9e377a, v66
	v_lshrrev_b32_e32 v42, 18, v42
	v_sub_nc_u16 v40, v86, v40
	v_mul_lo_u16 v41, 0x41, v41
	ds_write_b64 v214, v[91:92] offset:416
	s_waitcnt lgkmcnt(0)
	s_waitcnt_vscnt null, 0x0
	s_barrier
	v_and_b32_e32 v92, 0xff, v40
	v_mul_lo_u16 v40, 0x41, v42
	v_sub_nc_u16 v91, v85, v41
	buffer_gl0_inv
	s_clause 0x1
	global_load_dwordx4 v[68:71], v76, s[4:5] offset:416
	global_load_dwordx4 v[64:67], v76, s[4:5] offset:432
	v_sub_nc_u16 v90, v88, v40
	v_lshlrev_b16 v41, 5, v91
	v_lshlrev_b32_e32 v42, 5, v92
	v_lshlrev_b32_e32 v88, 5, v88
	v_lshlrev_b16 v43, 5, v90
	v_and_b32_e32 v40, 0xffff, v41
	s_clause 0x1
	global_load_dwordx4 v[60:63], v42, s[4:5] offset:416
	global_load_dwordx4 v[56:59], v42, s[4:5] offset:432
	v_and_b32_e32 v42, 0xffff, v43
	v_add_co_u32 v40, s0, s4, v40
	v_add_co_ci_u32_e64 v41, null, s5, 0, s0
	v_add_co_u32 v42, s0, s4, v42
	v_add_co_ci_u32_e64 v43, null, s5, 0, s0
	s_clause 0x3
	global_load_dwordx4 v[52:55], v[40:41], off offset:416
	global_load_dwordx4 v[44:47], v[40:41], off offset:432
	;; [unrolled: 1-line block ×4, first 2 shown]
	ds_read2_b64 v[72:75], v118 offset0:4 offset1:69
	ds_read2_b64 v[97:100], v116 offset0:138 offset1:203
	;; [unrolled: 1-line block ×5, first 2 shown]
	v_add_co_u32 v87, s0, s4, v76
	ds_read2_b64 v[121:124], v120 offset0:16 offset1:81
	ds_read2_b64 v[80:83], v205 offset1:65
	ds_read2_b64 v[76:79], v205 offset0:130 offset1:195
	ds_read2_b64 v[125:128], v117 offset0:12 offset1:77
	;; [unrolled: 1-line block ×5, first 2 shown]
	ds_read_b64 v[113:114], v205 offset:12480
	s_waitcnt vmcnt(0) lgkmcnt(0)
	s_barrier
	buffer_gl0_inv
	v_add_co_ci_u32_e64 v89, null, s5, 0, s0
	v_mul_f32_e32 v115, v75, v69
	v_mul_f32_e32 v141, v74, v69
	;; [unrolled: 1-line block ×20, first 2 shown]
	v_fma_f32 v115, v74, v68, -v115
	v_mul_f32_e32 v209, v134, v53
	v_mul_f32_e32 v215, v133, v53
	;; [unrolled: 1-line block ×6, first 2 shown]
	v_fmac_f32_e32 v141, v75, v68
	v_fma_f32 v142, v97, v70, -v142
	v_fmac_f32_e32 v143, v98, v70
	v_fma_f32 v144, v103, v64, -v144
	;; [unrolled: 2-line block ×4, first 2 shown]
	v_fma_f32 v104, v99, v70, -v150
	v_fma_f32 v109, v121, v64, -v152
	;; [unrolled: 1-line block ×3, first 2 shown]
	v_mul_f32_e32 v159, v125, v63
	v_mul_f32_e32 v201, v124, v57
	;; [unrolled: 1-line block ×9, first 2 shown]
	v_fmac_f32_e32 v149, v110, v68
	v_fmac_f32_e32 v151, v100, v70
	;; [unrolled: 1-line block ×3, first 2 shown]
	v_fma_f32 v122, v107, v66, -v154
	v_fmac_f32_e32 v155, v108, v66
	v_fmac_f32_e32 v157, v112, v60
	v_fma_f32 v148, v125, v62, -v158
	v_fma_f32 v129, v129, v58, -v203
	;; [unrolled: 1-line block ×3, first 2 shown]
	v_fmac_f32_e32 v215, v134, v52
	v_fma_f32 v134, v127, v54, -v216
	v_fmac_f32_e32 v217, v128, v54
	v_fma_f32 v74, v101, v50, -v224
	v_fma_f32 v98, v113, v42, -v226
	v_add_f32_e32 v100, v80, v115
	v_add_f32_e32 v101, v142, v144
	v_sub_f32_e32 v107, v142, v115
	v_sub_f32_e32 v108, v144, v146
	v_add_f32_e32 v110, v81, v141
	v_add_f32_e32 v111, v143, v145
	v_sub_f32_e32 v112, v141, v143
	v_sub_f32_e32 v113, v147, v145
	v_add_f32_e32 v121, v141, v147
	v_add_f32_e32 v127, v82, v103
	;; [unrolled: 1-line block ×4, first 2 shown]
	v_mul_f32_e32 v220, v137, v45
	v_mul_f32_e32 v221, v132, v47
	v_mul_f32_e32 v222, v131, v47
	v_mul_f32_e32 v93, v135, v49
	v_fmac_f32_e32 v159, v126, v62
	v_fma_f32 v150, v123, v56, -v201
	v_fmac_f32_e32 v202, v124, v56
	v_fmac_f32_e32 v204, v130, v58
	v_fma_f32 v97, v135, v48, -v223
	v_fmac_f32_e32 v95, v102, v50
	v_fma_f32 v75, v139, v40, -v225
	v_fmac_f32_e32 v96, v140, v40
	v_fmac_f32_e32 v94, v114, v42
	v_sub_f32_e32 v114, v141, v147
	v_sub_f32_e32 v124, v143, v145
	;; [unrolled: 1-line block ×4, first 2 shown]
	v_add_f32_e32 v106, v115, v146
	v_sub_f32_e32 v115, v115, v146
	v_sub_f32_e32 v125, v142, v144
	;; [unrolled: 1-line block ×5, first 2 shown]
	v_add_f32_e32 v135, v103, v122
	v_add_f32_e32 v140, v83, v149
	;; [unrolled: 1-line block ×3, first 2 shown]
	v_sub_f32_e32 v223, v99, v148
	v_add_f32_e32 v225, v99, v129
	v_sub_f32_e32 v226, v148, v99
	v_add_f32_e32 v228, v77, v157
	;; [unrolled: 2-line block ×3, first 2 shown]
	v_add_f32_e32 v232, v107, v108
	v_add_f32_e32 v108, v110, v143
	v_fma_f32 v99, -0.5, v101, v80
	v_fma_f32 v100, -0.5, v111, v81
	v_add_f32_e32 v143, v112, v113
	v_fma_f32 v81, -0.5, v121, v81
	v_add_f32_e32 v110, v127, v104
	v_fma_f32 v101, -0.5, v128, v82
	v_add_f32_e32 v113, v209, v148
	v_mul_f32_e32 v219, v138, v45
	v_fmac_f32_e32 v220, v138, v44
	v_fma_f32 v138, v131, v46, -v221
	v_fmac_f32_e32 v222, v132, v46
	v_sub_f32_e32 v131, v151, v153
	v_sub_f32_e32 v132, v103, v104
	;; [unrolled: 1-line block ×6, first 2 shown]
	v_add_f32_e32 v229, v159, v202
	v_add_f32_e32 v231, v102, v105
	v_fma_f32 v80, -0.5, v106, v80
	v_add_f32_e32 v233, v123, v126
	v_fma_f32 v82, -0.5, v135, v82
	;; [unrolled: 2-line block ×3, first 2 shown]
	v_add_f32_e32 v140, v228, v159
	v_add_f32_e32 v123, v142, v144
	;; [unrolled: 1-line block ×3, first 2 shown]
	v_fmamk_f32 v106, v115, 0xbf737871, v100
	v_fmac_f32_e32 v100, 0x3f737871, v115
	v_fmamk_f32 v108, v125, 0x3f737871, v81
	v_fmac_f32_e32 v81, 0xbf737871, v125
	v_add_f32_e32 v127, v110, v109
	v_fmamk_f32 v109, v130, 0x3f737871, v101
	v_fmac_f32_e32 v101, 0xbf737871, v130
	v_add_f32_e32 v142, v113, v150
	v_fmac_f32_e32 v93, v136, v48
	v_sub_f32_e32 v136, v104, v103
	v_sub_f32_e32 v103, v149, v151
	;; [unrolled: 1-line block ×3, first 2 shown]
	v_add_f32_e32 v216, v148, v150
	v_sub_f32_e32 v224, v129, v150
	v_sub_f32_e32 v227, v150, v129
	v_add_f32_e32 v128, v132, v133
	v_fma_f32 v104, -0.5, v229, v77
	v_fmamk_f32 v107, v124, 0xbf737871, v80
	v_fmac_f32_e32 v80, 0x3f737871, v124
	v_fmamk_f32 v111, v131, 0xbf737871, v82
	v_fmac_f32_e32 v82, 0x3f737871, v131
	;; [unrolled: 2-line block ×3, first 2 shown]
	v_fmac_f32_e32 v106, 0xbf167918, v125
	v_fmac_f32_e32 v100, 0x3f167918, v125
	;; [unrolled: 1-line block ×4, first 2 shown]
	v_add_f32_e32 v125, v127, v122
	v_fmac_f32_e32 v109, 0x3f167918, v131
	v_fmac_f32_e32 v101, 0xbf167918, v131
	v_add_f32_e32 v127, v142, v129
	v_add_f32_e32 v115, v140, v202
	v_sub_f32_e32 v129, v157, v159
	v_sub_f32_e32 v131, v204, v202
	v_add_f32_e32 v201, v149, v155
	v_sub_f32_e32 v221, v159, v202
	v_add_f32_e32 v133, v103, v158
	v_fma_f32 v103, -0.5, v216, v76
	v_fma_f32 v76, -0.5, v225, v76
	v_fmamk_f32 v105, v114, 0x3f737871, v99
	v_fmac_f32_e32 v99, 0xbf737871, v114
	v_fmac_f32_e32 v107, 0x3f167918, v114
	;; [unrolled: 1-line block ×9, first 2 shown]
	v_fmamk_f32 v114, v230, 0xbf737871, v104
	v_add_f32_e32 v122, v157, v204
	v_sub_f32_e32 v130, v148, v150
	v_add_f32_e32 v128, v115, v204
	v_add_f32_e32 v115, v129, v131
	v_fmac_f32_e32 v104, 0x3f737871, v230
	v_sub_f32_e32 v129, v159, v157
	v_sub_f32_e32 v131, v202, v204
	v_fma_f32 v137, v137, v44, -v219
	v_sub_f32_e32 v219, v157, v204
	v_add_f32_e32 v132, v136, v139
	v_fmac_f32_e32 v83, -0.5, v201
	v_fmamk_f32 v121, v221, 0xbf737871, v76
	v_fmac_f32_e32 v76, 0x3f737871, v221
	v_fmac_f32_e32 v110, 0x3e9e377a, v133
	;; [unrolled: 1-line block ×3, first 2 shown]
	v_fma_f32 v77, -0.5, v122, v77
	v_fmac_f32_e32 v114, 0xbf167918, v130
	v_fmac_f32_e32 v104, 0x3f167918, v130
	v_add_f32_e32 v133, v129, v131
	v_add_f32_e32 v131, v78, v152
	v_sub_f32_e32 v149, v151, v149
	v_sub_f32_e32 v203, v153, v155
	v_add_f32_e32 v139, v226, v227
	v_add_f32_e32 v141, v112, v153
	v_fmamk_f32 v112, v156, 0x3f737871, v83
	v_fmac_f32_e32 v83, 0xbf737871, v156
	v_fmamk_f32 v113, v219, 0x3f737871, v103
	v_fmac_f32_e32 v103, 0xbf737871, v219
	v_fmac_f32_e32 v121, 0x3f167918, v219
	;; [unrolled: 1-line block ×5, first 2 shown]
	v_fmamk_f32 v122, v130, 0x3f737871, v77
	v_fmac_f32_e32 v114, 0x3e9e377a, v115
	v_add_f32_e32 v132, v134, v137
	v_fmac_f32_e32 v104, 0x3e9e377a, v115
	v_fmac_f32_e32 v77, 0xbf737871, v130
	v_add_f32_e32 v115, v131, v134
	v_add_f32_e32 v135, v149, v203
	;; [unrolled: 1-line block ×3, first 2 shown]
	v_fmac_f32_e32 v112, 0xbf167918, v154
	v_fmac_f32_e32 v83, 0x3f167918, v154
	;; [unrolled: 1-line block ×7, first 2 shown]
	v_fma_f32 v129, -0.5, v132, v78
	v_sub_f32_e32 v132, v215, v222
	v_add_f32_e32 v139, v152, v138
	v_fmac_f32_e32 v77, 0x3f167918, v230
	v_add_f32_e32 v115, v115, v137
	v_fmac_f32_e32 v112, 0x3e9e377a, v135
	v_fmac_f32_e32 v83, 0x3e9e377a, v135
	;; [unrolled: 1-line block ×5, first 2 shown]
	v_fmamk_f32 v131, v132, 0x3f737871, v129
	v_sub_f32_e32 v130, v217, v220
	v_sub_f32_e32 v135, v152, v134
	;; [unrolled: 1-line block ×3, first 2 shown]
	v_fma_f32 v78, -0.5, v139, v78
	v_fmac_f32_e32 v77, 0x3e9e377a, v133
	v_add_f32_e32 v133, v115, v138
	v_fmac_f32_e32 v129, 0xbf737871, v132
	v_sub_f32_e32 v115, v134, v152
	v_sub_f32_e32 v139, v137, v138
	v_add_f32_e32 v140, v79, v215
	v_fmac_f32_e32 v105, 0x3f167918, v124
	v_fmac_f32_e32 v99, 0xbf167918, v124
	v_add_f32_e32 v124, v126, v147
	v_add_f32_e32 v126, v141, v155
	v_fmac_f32_e32 v131, 0x3f167918, v130
	v_add_f32_e32 v136, v135, v136
	v_fmamk_f32 v135, v130, 0xbf737871, v78
	v_fmac_f32_e32 v129, 0xbf167918, v130
	v_add_f32_e32 v141, v217, v220
	v_add_f32_e32 v115, v115, v139
	v_fmac_f32_e32 v78, 0x3f737871, v130
	v_add_f32_e32 v139, v140, v217
	v_fmac_f32_e32 v131, 0x3e9e377a, v136
	v_fmac_f32_e32 v135, 0x3f167918, v132
	v_fma_f32 v130, -0.5, v141, v79
	v_sub_f32_e32 v138, v152, v138
	v_fmac_f32_e32 v129, 0x3e9e377a, v136
	v_fmac_f32_e32 v78, 0xbf167918, v132
	v_add_f32_e32 v136, v139, v220
	v_add_f32_e32 v139, v215, v222
	v_sub_f32_e32 v140, v215, v217
	v_sub_f32_e32 v141, v222, v220
	v_fmac_f32_e32 v135, 0x3e9e377a, v115
	v_fmamk_f32 v132, v138, 0xbf737871, v130
	v_sub_f32_e32 v137, v134, v137
	v_fmac_f32_e32 v78, 0x3e9e377a, v115
	v_fmac_f32_e32 v79, -0.5, v139
	v_add_f32_e32 v115, v140, v141
	v_fmac_f32_e32 v130, 0x3f737871, v138
	v_sub_f32_e32 v139, v217, v215
	v_sub_f32_e32 v140, v220, v222
	v_add_f32_e32 v141, v74, v75
	v_add_f32_e32 v134, v136, v222
	v_fmac_f32_e32 v132, 0xbf167918, v137
	v_fmamk_f32 v136, v137, 0x3f737871, v79
	v_fmac_f32_e32 v130, 0x3f167918, v137
	v_add_f32_e32 v140, v139, v140
	v_fmac_f32_e32 v79, 0xbf737871, v137
	v_add_f32_e32 v139, v72, v97
	v_fma_f32 v137, -0.5, v141, v72
	v_sub_f32_e32 v142, v93, v94
	v_fmac_f32_e32 v106, 0x3e9e377a, v143
	v_fmac_f32_e32 v100, 0x3e9e377a, v143
	;; [unrolled: 1-line block ×6, first 2 shown]
	v_add_f32_e32 v115, v139, v74
	v_fmamk_f32 v139, v142, 0x3f737871, v137
	v_sub_f32_e32 v138, v95, v96
	v_sub_f32_e32 v141, v97, v74
	;; [unrolled: 1-line block ×3, first 2 shown]
	v_fmac_f32_e32 v137, 0xbf737871, v142
	v_add_f32_e32 v144, v97, v98
	v_fmac_f32_e32 v139, 0x3f167918, v138
	v_add_f32_e32 v115, v115, v75
	v_add_f32_e32 v143, v141, v143
	v_fmac_f32_e32 v137, 0xbf167918, v138
	v_fma_f32 v72, -0.5, v144, v72
	v_fmac_f32_e32 v136, 0x3e9e377a, v140
	v_fmac_f32_e32 v79, 0x3e9e377a, v140
	;; [unrolled: 1-line block ×4, first 2 shown]
	v_fmamk_f32 v143, v138, 0xbf737871, v72
	v_fmac_f32_e32 v72, 0x3f737871, v138
	v_add_f32_e32 v141, v115, v98
	v_add_f32_e32 v115, v95, v96
	v_sub_f32_e32 v140, v74, v97
	v_sub_f32_e32 v144, v75, v98
	v_fmac_f32_e32 v143, 0x3f167918, v142
	v_fmac_f32_e32 v72, 0xbf167918, v142
	v_add_f32_e32 v142, v93, v94
	v_add_f32_e32 v145, v73, v93
	v_fma_f32 v138, -0.5, v115, v73
	v_sub_f32_e32 v97, v97, v98
	v_add_f32_e32 v98, v140, v144
	v_sub_f32_e32 v74, v74, v75
	v_fmac_f32_e32 v73, -0.5, v142
	v_add_f32_e32 v115, v145, v95
	v_fmamk_f32 v140, v97, 0xbf737871, v138
	v_fmac_f32_e32 v143, 0x3e9e377a, v98
	v_fmac_f32_e32 v72, 0x3e9e377a, v98
	v_sub_f32_e32 v98, v93, v95
	v_fmac_f32_e32 v138, 0x3f737871, v97
	v_fmamk_f32 v144, v74, 0x3f737871, v73
	v_sub_f32_e32 v93, v95, v93
	v_sub_f32_e32 v95, v96, v94
	v_fmac_f32_e32 v73, 0xbf737871, v74
	v_add_f32_e32 v75, v115, v96
	v_fmac_f32_e32 v140, 0xbf167918, v74
	v_fmac_f32_e32 v138, 0x3f167918, v74
	;; [unrolled: 1-line block ×3, first 2 shown]
	v_add_f32_e32 v74, v93, v95
	v_fmac_f32_e32 v73, 0x3f167918, v97
	v_sub_f32_e32 v115, v94, v96
	v_add_f32_e32 v142, v75, v94
	v_lshl_add_u32 v215, v92, 3, v161
	v_fmac_f32_e32 v144, 0x3e9e377a, v74
	v_fmac_f32_e32 v73, 0x3e9e377a, v74
	v_and_b32_e32 v74, 0xffff, v91
	v_and_b32_e32 v75, 0xffff, v90
	v_add_f32_e32 v123, v123, v146
	v_fmac_f32_e32 v105, 0x3e9e377a, v231
	v_fmac_f32_e32 v107, 0x3e9e377a, v232
	;; [unrolled: 1-line block ×6, first 2 shown]
	v_add_f32_e32 v96, v98, v115
	v_lshl_add_u32 v0, v74, 3, v161
	v_add_nc_u32_e32 v74, 0x1800, v215
	v_lshl_add_u32 v217, v75, 3, v161
	ds_write2_b64 v205, v[123:124], v[105:106] offset1:65
	ds_write2_b64 v205, v[107:108], v[80:81] offset0:130 offset1:195
	v_add_nc_u32_e32 v80, 0x1000, v215
	v_fmac_f32_e32 v140, 0x3e9e377a, v96
	ds_write2_b64 v118, v[99:100], v[125:126] offset0:4 offset1:69
	ds_write2_b64 v118, v[109:110], v[111:112] offset0:134 offset1:199
	;; [unrolled: 1-line block ×3, first 2 shown]
	v_add_nc_u32_e32 v75, 0x1c00, v0
	ds_write2_b64 v74, v[121:122], v[76:77] offset0:12 offset1:77
	v_add_nc_u32_e32 v74, 0x2800, v217
	ds_write2_b64 v80, v[127:128], v[113:114] offset0:138 offset1:203
	v_add_nc_u32_e32 v80, 0x2000, v0
	v_fmac_f32_e32 v138, 0x3e9e377a, v96
	ds_write_b64 v215, v[103:104] offset:7280
	ds_write2_b64 v75, v[133:134], v[131:132] offset0:79 offset1:144
	ds_write2_b64 v80, v[135:136], v[78:79] offset0:81 offset1:146
	buffer_store_dword v0, off, s[16:19], 0 offset:40 ; 4-byte Folded Spill
	ds_write_b64 v0, v[129:130] offset:9880
	ds_write2_b64 v74, v[141:142], v[139:140] offset0:20 offset1:85
	ds_write2_b64 v74, v[143:144], v[72:73] offset0:150 offset1:215
	ds_write_b64 v217, v[137:138] offset:12480
	v_add_co_u32 v72, s0, 0x800, v87
	v_add_co_ci_u32_e64 v73, s0, 0, v89, s0
	v_add_co_u32 v74, s0, 0x9c0, v87
	v_add_co_ci_u32_e64 v75, s0, 0, v89, s0
	s_waitcnt lgkmcnt(0)
	s_waitcnt_vscnt null, 0x0
	s_barrier
	buffer_gl0_inv
	s_clause 0x1
	global_load_dwordx4 v[80:83], v[72:73], off offset:448
	global_load_dwordx4 v[76:79], v[74:75], off offset:16
	v_add_co_u32 v74, s0, s4, v84
	v_add_co_ci_u32_e64 v75, null, s5, 0, s0
	v_lshlrev_b32_e32 v84, 5, v86
	v_add_co_u32 v72, s0, 0x9c0, v74
	v_add_co_ci_u32_e64 v73, s0, 0, v75, s0
	v_add_co_u32 v86, s0, s4, v84
	v_add_co_ci_u32_e64 v87, null, s5, 0, s0
	v_add_co_u32 v74, s0, 0x800, v74
	v_lshlrev_b32_e32 v89, 5, v85
	v_add_co_ci_u32_e64 v75, s0, 0, v75, s0
	v_add_co_u32 v84, s0, 0x800, v86
	v_add_co_ci_u32_e64 v85, s0, 0, v87, s0
	v_add_co_u32 v89, s0, s4, v89
	s_clause 0x1
	global_load_dwordx4 v[108:111], v[74:75], off offset:448
	global_load_dwordx4 v[104:107], v[72:73], off offset:16
	v_add_co_ci_u32_e64 v90, null, s5, 0, s0
	v_add_co_u32 v72, s0, 0x9c0, v86
	v_add_co_ci_u32_e64 v73, s0, 0, v87, s0
	v_add_co_u32 v74, s0, 0x800, v89
	v_add_co_ci_u32_e64 v75, s0, 0, v90, s0
	s_clause 0x1
	global_load_dwordx4 v[96:99], v[84:85], off offset:448
	global_load_dwordx4 v[84:87], v[72:73], off offset:16
	v_add_co_u32 v72, s0, 0x9c0, v89
	v_add_co_ci_u32_e64 v73, s0, 0, v90, s0
	v_add_co_u32 v92, s0, s4, v88
	v_add_co_ci_u32_e64 v93, null, s5, 0, s0
	s_clause 0x1
	global_load_dwordx4 v[100:103], v[74:75], off offset:448
	global_load_dwordx4 v[88:91], v[72:73], off offset:16
	v_add_co_u32 v72, s0, 0x800, v92
	v_add_co_ci_u32_e64 v73, s0, 0, v93, s0
	v_add_co_u32 v74, s0, 0x9c0, v92
	v_add_co_ci_u32_e64 v75, s0, 0, v93, s0
	s_clause 0x1
	global_load_dwordx4 v[92:95], v[72:73], off offset:448
	global_load_dwordx4 v[72:75], v[74:75], off offset:16
	ds_read2_b64 v[112:115], v118 offset0:4 offset1:69
	ds_read2_b64 v[123:126], v116 offset0:138 offset1:203
	;; [unrolled: 1-line block ×6, first 2 shown]
	ds_read2_b64 v[134:137], v205 offset1:65
	ds_read2_b64 v[201:204], v117 offset0:12 offset1:77
	ds_read2_b64 v[219:222], v119 offset0:150 offset1:215
	;; [unrolled: 1-line block ×4, first 2 shown]
	ds_read_b64 v[120:121], v205 offset:12480
	s_waitcnt vmcnt(9) lgkmcnt(11)
	v_mul_f32_e32 v131, v115, v81
	v_mul_f32_e32 v150, v114, v81
	s_waitcnt lgkmcnt(10)
	v_mul_f32_e32 v133, v124, v83
	v_mul_f32_e32 v151, v123, v83
	s_waitcnt vmcnt(8) lgkmcnt(9)
	v_mul_f32_e32 v156, v130, v77
	s_waitcnt lgkmcnt(8)
	v_mul_f32_e32 v157, v139, v79
	v_mul_f32_e32 v209, v129, v77
	;; [unrolled: 1-line block ×3, first 2 shown]
	v_fma_f32 v252, v123, v82, -v133
	v_fmac_f32_e32 v151, v124, v82
	v_fma_f32 v114, v114, v80, -v131
	v_fmac_f32_e32 v150, v115, v80
	;; [unrolled: 2-line block ×3, first 2 shown]
	v_fmac_f32_e32 v209, v130, v76
	v_add_f32_e32 v130, v151, v209
	s_waitcnt lgkmcnt(5)
	v_fma_f32 v139, -0.5, v130, v135
	s_waitcnt vmcnt(7)
	v_mul_f32_e32 v230, v126, v111
	v_mul_f32_e32 v231, v125, v111
	s_waitcnt vmcnt(6)
	v_mul_f32_e32 v234, v141, v107
	v_mul_f32_e32 v228, v143, v109
	;; [unrolled: 1-line block ×3, first 2 shown]
	v_fma_f32 v124, v125, v110, -v230
	v_fma_f32 v125, v138, v78, -v157
	;; [unrolled: 1-line block ×3, first 2 shown]
	v_mul_f32_e32 v229, v142, v109
	v_mul_f32_e32 v232, v147, v105
	v_fmac_f32_e32 v231, v126, v110
	s_waitcnt vmcnt(5)
	v_mul_f32_e32 v236, v145, v97
	v_mul_f32_e32 v237, v144, v97
	v_fma_f32 v126, v142, v108, -v228
	v_mul_f32_e32 v233, v146, v105
	v_fma_f32 v232, v146, v104, -v232
	v_fma_f32 v228, v144, v96, -v236
	v_fmac_f32_e32 v235, v141, v106
	v_fmac_f32_e32 v229, v143, v108
	;; [unrolled: 1-line block ×3, first 2 shown]
	s_waitcnt vmcnt(3) lgkmcnt(2)
	v_mul_f32_e32 v244, v117, v101
	v_mul_f32_e32 v122, v116, v101
	v_fmac_f32_e32 v233, v147, v104
	v_mul_f32_e32 v240, v149, v85
	v_mul_f32_e32 v238, v202, v99
	v_fma_f32 v129, v116, v100, -v244
	v_fmac_f32_e32 v122, v117, v100
	v_add_f32_e32 v116, v134, v114
	v_add_f32_e32 v117, v252, v115
	v_mul_f32_e32 v241, v148, v85
	v_fma_f32 v234, v148, v84, -v240
	s_waitcnt vmcnt(1)
	v_mul_f32_e32 v249, v128, v95
	v_mul_f32_e32 v248, v119, v93
	;; [unrolled: 1-line block ×4, first 2 shown]
	v_fma_f32 v138, -0.5, v117, v134
	v_fma_f32 v123, v127, v94, -v249
	v_add_f32_e32 v127, v114, v125
	v_fma_f32 v133, v118, v92, -v248
	v_fmac_f32_e32 v152, v119, v92
	v_sub_f32_e32 v118, v150, v227
	v_sub_f32_e32 v119, v151, v209
	v_add_f32_e32 v116, v116, v252
	v_fma_f32 v140, -0.5, v127, v134
	v_fmac_f32_e32 v153, v128, v94
	v_add_f32_e32 v128, v135, v150
	v_fmamk_f32 v142, v118, 0x3f737871, v138
	v_fmac_f32_e32 v138, 0xbf737871, v118
	v_add_f32_e32 v116, v116, v115
	v_fmamk_f32 v144, v119, 0xbf737871, v140
	v_fmac_f32_e32 v140, 0x3f737871, v119
	s_waitcnt vmcnt(0) lgkmcnt(0)
	v_mul_f32_e32 v251, v121, v75
	v_mul_f32_e32 v155, v120, v75
	v_sub_f32_e32 v117, v252, v114
	v_fmac_f32_e32 v142, 0x3f167918, v119
	v_fmac_f32_e32 v138, 0xbf167918, v119
	v_add_f32_e32 v146, v116, v125
	v_sub_f32_e32 v116, v115, v125
	v_add_f32_e32 v119, v128, v151
	v_fmac_f32_e32 v144, 0x3f167918, v118
	v_fmac_f32_e32 v140, 0xbf167918, v118
	v_add_f32_e32 v118, v150, v227
	v_fma_f32 v157, v120, v74, -v251
	v_fmac_f32_e32 v155, v121, v74
	v_sub_f32_e32 v120, v114, v252
	v_sub_f32_e32 v121, v125, v115
	;; [unrolled: 1-line block ×3, first 2 shown]
	v_add_f32_e32 v116, v117, v116
	v_add_f32_e32 v117, v119, v209
	v_sub_f32_e32 v115, v252, v115
	v_fma_f32 v141, -0.5, v118, v135
	v_fmamk_f32 v143, v114, 0xbf737871, v139
	v_fmac_f32_e32 v144, 0x3e9e377a, v116
	v_fmac_f32_e32 v140, 0x3e9e377a, v116
	v_add_f32_e32 v147, v117, v227
	v_sub_f32_e32 v116, v150, v151
	v_sub_f32_e32 v117, v227, v209
	v_fmac_f32_e32 v139, 0x3f737871, v114
	v_fmamk_f32 v145, v115, 0x3f737871, v141
	v_fmac_f32_e32 v141, 0xbf737871, v115
	v_fmac_f32_e32 v143, 0xbf167918, v115
	v_add_f32_e32 v116, v116, v117
	v_add_f32_e32 v117, v124, v232
	v_fmac_f32_e32 v139, 0x3f167918, v115
	v_fmac_f32_e32 v145, 0xbf167918, v114
	;; [unrolled: 1-line block ×3, first 2 shown]
	v_add_f32_e32 v114, v126, v230
	v_fmac_f32_e32 v143, 0x3e9e377a, v116
	v_fma_f32 v148, -0.5, v117, v136
	v_sub_f32_e32 v117, v229, v235
	v_fmac_f32_e32 v139, 0x3e9e377a, v116
	v_add_f32_e32 v115, v136, v126
	v_sub_f32_e32 v116, v231, v233
	v_fma_f32 v136, -0.5, v114, v136
	v_mul_f32_e32 v239, v201, v99
	v_fma_f32 v236, v201, v98, -v238
	v_sub_f32_e32 v118, v151, v150
	v_sub_f32_e32 v119, v209, v227
	v_fmamk_f32 v150, v117, 0x3f737871, v148
	v_fmac_f32_e32 v148, 0xbf737871, v117
	v_fmamk_f32 v201, v116, 0xbf737871, v136
	v_fmac_f32_e32 v136, 0x3f737871, v116
	v_add_f32_e32 v120, v120, v121
	v_add_f32_e32 v118, v118, v119
	;; [unrolled: 1-line block ×3, first 2 shown]
	v_fmac_f32_e32 v150, 0x3f167918, v116
	v_fmac_f32_e32 v148, 0xbf167918, v116
	v_add_f32_e32 v116, v231, v233
	v_fmac_f32_e32 v201, 0x3f167918, v117
	v_fmac_f32_e32 v136, 0xbf167918, v117
	v_add_f32_e32 v117, v137, v229
	v_mul_f32_e32 v245, v204, v103
	v_fmac_f32_e32 v241, v149, v84
	v_fmac_f32_e32 v142, 0x3e9e377a, v120
	;; [unrolled: 1-line block ×4, first 2 shown]
	v_sub_f32_e32 v119, v126, v124
	v_sub_f32_e32 v120, v230, v232
	v_fmac_f32_e32 v141, 0x3e9e377a, v118
	v_add_f32_e32 v114, v115, v232
	v_sub_f32_e32 v115, v124, v126
	v_sub_f32_e32 v118, v232, v230
	v_fma_f32 v149, -0.5, v116, v137
	v_sub_f32_e32 v116, v126, v230
	v_add_f32_e32 v117, v117, v231
	v_sub_f32_e32 v121, v124, v232
	ds_read2_b64 v[124:127], v205 offset0:130 offset1:195
	v_mul_f32_e32 v242, v220, v87
	v_mul_f32_e32 v132, v203, v103
	v_fma_f32 v238, v203, v102, -v245
	v_add_f32_e32 v119, v119, v120
	v_add_f32_e32 v115, v115, v118
	;; [unrolled: 1-line block ×5, first 2 shown]
	v_fmac_f32_e32 v132, v204, v102
	v_fma_f32 v240, v219, v86, -v242
	v_fmac_f32_e32 v150, 0x3e9e377a, v119
	v_fmac_f32_e32 v148, 0x3e9e377a, v119
	v_sub_f32_e32 v118, v229, v231
	v_sub_f32_e32 v119, v235, v233
	v_fmac_f32_e32 v137, -0.5, v120
	v_fmac_f32_e32 v201, 0x3e9e377a, v115
	v_fmac_f32_e32 v136, 0x3e9e377a, v115
	v_add_f32_e32 v204, v114, v235
	v_sub_f32_e32 v114, v231, v229
	v_sub_f32_e32 v115, v233, v235
	v_mul_f32_e32 v243, v219, v87
	v_fmac_f32_e32 v239, v202, v98
	v_fmamk_f32 v151, v116, 0xbf737871, v149
	v_add_f32_e32 v118, v118, v119
	v_fmac_f32_e32 v149, 0x3f737871, v116
	v_fmamk_f32 v202, v121, 0x3f737871, v137
	v_fmac_f32_e32 v137, 0xbf737871, v121
	v_add_f32_e32 v114, v114, v115
	v_sub_f32_e32 v115, v228, v236
	v_sub_f32_e32 v119, v240, v234
	v_add_f32_e32 v120, v228, v240
	v_mul_f32_e32 v247, v222, v91
	v_fmac_f32_e32 v243, v220, v86
	v_fmac_f32_e32 v151, 0xbf167918, v121
	;; [unrolled: 1-line block ×3, first 2 shown]
	v_add_f32_e32 v117, v236, v234
	v_fmac_f32_e32 v202, 0xbf167918, v116
	v_fmac_f32_e32 v137, 0x3f167918, v116
	v_add_f32_e32 v115, v115, v119
	s_waitcnt lgkmcnt(0)
	v_fma_f32 v116, -0.5, v120, v124
	v_sub_f32_e32 v119, v239, v241
	v_mul_f32_e32 v159, v221, v91
	v_fma_f32 v242, v221, v90, -v247
	v_fmac_f32_e32 v151, 0x3e9e377a, v118
	v_fmac_f32_e32 v149, 0x3e9e377a, v118
	v_fma_f32 v118, -0.5, v117, v124
	v_sub_f32_e32 v117, v237, v243
	v_fmamk_f32 v221, v119, 0xbf737871, v116
	v_fmac_f32_e32 v116, 0x3f737871, v119
	v_sub_f32_e32 v120, v236, v228
	v_sub_f32_e32 v121, v234, v240
	v_fmamk_f32 v219, v117, 0x3f737871, v118
	v_fmac_f32_e32 v118, 0xbf737871, v117
	v_fmac_f32_e32 v221, 0x3f167918, v117
	;; [unrolled: 1-line block ×3, first 2 shown]
	v_add_f32_e32 v117, v124, v228
	v_fmac_f32_e32 v219, 0x3f167918, v119
	v_fmac_f32_e32 v118, 0xbf167918, v119
	v_add_f32_e32 v119, v120, v121
	v_fmac_f32_e32 v202, 0x3e9e377a, v114
	v_fmac_f32_e32 v137, 0x3e9e377a, v114
	v_add_f32_e32 v114, v239, v241
	v_add_f32_e32 v117, v117, v236
	v_fmac_f32_e32 v219, 0x3e9e377a, v115
	v_fmac_f32_e32 v118, 0x3e9e377a, v115
	;; [unrolled: 1-line block ×4, first 2 shown]
	v_fma_f32 v119, -0.5, v114, v125
	v_add_f32_e32 v114, v117, v234
	v_add_f32_e32 v115, v125, v237
	v_sub_f32_e32 v117, v237, v239
	v_sub_f32_e32 v120, v243, v241
	v_add_f32_e32 v121, v237, v243
	v_mul_f32_e32 v246, v224, v89
	v_sub_f32_e32 v124, v236, v234
	v_add_f32_e32 v115, v115, v239
	v_sub_f32_e32 v128, v228, v240
	v_add_f32_e32 v120, v117, v120
	v_fma_f32 v117, -0.5, v121, v125
	v_mul_f32_e32 v158, v223, v89
	v_fmac_f32_e32 v159, v222, v90
	v_fma_f32 v131, v223, v88, -v246
	v_sub_f32_e32 v121, v239, v237
	v_add_f32_e32 v115, v115, v241
	v_fmamk_f32 v220, v128, 0xbf737871, v119
	v_fmac_f32_e32 v119, 0x3f737871, v128
	v_fmamk_f32 v222, v124, 0x3f737871, v117
	v_sub_f32_e32 v125, v241, v243
	v_fmac_f32_e32 v117, 0xbf737871, v124
	v_fmac_f32_e32 v158, v224, v88
	v_add_f32_e32 v223, v114, v240
	v_fmac_f32_e32 v220, 0xbf167918, v124
	v_fmac_f32_e32 v119, 0x3f167918, v124
	v_fmac_f32_e32 v222, 0xbf167918, v128
	v_add_f32_e32 v114, v121, v125
	v_add_f32_e32 v224, v115, v243
	;; [unrolled: 1-line block ×3, first 2 shown]
	v_fmac_f32_e32 v117, 0x3f167918, v128
	v_add_f32_e32 v125, v129, v242
	v_fmac_f32_e32 v220, 0x3e9e377a, v120
	v_fmac_f32_e32 v119, 0x3e9e377a, v120
	;; [unrolled: 1-line block ×3, first 2 shown]
	v_fma_f32 v120, -0.5, v115, v126
	v_sub_f32_e32 v115, v122, v159
	v_sub_f32_e32 v121, v129, v238
	;; [unrolled: 1-line block ×3, first 2 shown]
	v_fmac_f32_e32 v117, 0x3e9e377a, v114
	v_sub_f32_e32 v114, v132, v158
	v_add_f32_e32 v128, v126, v129
	v_fma_f32 v126, -0.5, v125, v126
	v_fmamk_f32 v130, v115, 0x3f737871, v120
	v_fmac_f32_e32 v120, 0xbf737871, v115
	v_add_f32_e32 v121, v121, v124
	v_add_f32_e32 v125, v128, v238
	v_fmamk_f32 v124, v114, 0xbf737871, v126
	v_fmac_f32_e32 v126, 0x3f737871, v114
	v_fmac_f32_e32 v130, 0x3f167918, v114
	;; [unrolled: 1-line block ×3, first 2 shown]
	v_sub_f32_e32 v128, v238, v129
	v_sub_f32_e32 v134, v131, v242
	v_add_f32_e32 v114, v125, v131
	v_add_f32_e32 v125, v127, v122
	v_fmac_f32_e32 v124, 0x3f167918, v115
	v_fmac_f32_e32 v126, 0xbf167918, v115
	v_add_f32_e32 v115, v132, v158
	v_mul_f32_e32 v250, v226, v73
	v_add_f32_e32 v134, v128, v134
	v_add_f32_e32 v128, v114, v242
	;; [unrolled: 1-line block ×3, first 2 shown]
	v_fmac_f32_e32 v130, 0x3e9e377a, v121
	v_fmac_f32_e32 v120, 0x3e9e377a, v121
	v_fma_f32 v121, -0.5, v115, v127
	v_sub_f32_e32 v115, v129, v242
	v_add_f32_e32 v125, v122, v159
	v_mul_f32_e32 v154, v225, v73
	v_fma_f32 v156, v225, v72, -v250
	v_add_f32_e32 v114, v114, v158
	v_sub_f32_e32 v135, v238, v131
	v_sub_f32_e32 v209, v122, v132
	;; [unrolled: 1-line block ×3, first 2 shown]
	v_fmamk_f32 v131, v115, 0xbf737871, v121
	v_fmac_f32_e32 v127, -0.5, v125
	v_fmac_f32_e32 v121, 0x3f737871, v115
	v_fmac_f32_e32 v124, 0x3e9e377a, v134
	v_fmac_f32_e32 v126, 0x3e9e377a, v134
	v_add_f32_e32 v129, v114, v159
	v_add_f32_e32 v114, v209, v225
	v_fmac_f32_e32 v131, 0xbf167918, v135
	v_fmamk_f32 v125, v135, 0x3f737871, v127
	v_sub_f32_e32 v122, v132, v122
	v_sub_f32_e32 v132, v158, v159
	v_add_f32_e32 v134, v112, v133
	v_fmac_f32_e32 v121, 0x3f167918, v135
	v_add_f32_e32 v158, v123, v156
	v_fmac_f32_e32 v127, 0xbf737871, v135
	v_fmac_f32_e32 v154, v226, v72
	;; [unrolled: 1-line block ×4, first 2 shown]
	v_add_f32_e32 v134, v134, v123
	v_fmac_f32_e32 v121, 0x3e9e377a, v114
	v_fma_f32 v114, -0.5, v158, v112
	v_sub_f32_e32 v135, v152, v155
	v_fmac_f32_e32 v127, 0x3f167918, v115
	v_sub_f32_e32 v115, v133, v123
	v_sub_f32_e32 v158, v157, v156
	v_add_f32_e32 v209, v133, v157
	v_add_f32_e32 v122, v122, v132
	v_fmamk_f32 v132, v135, 0x3f737871, v114
	v_sub_f32_e32 v159, v153, v154
	v_fmac_f32_e32 v114, 0xbf737871, v135
	v_add_f32_e32 v134, v134, v156
	v_add_f32_e32 v115, v115, v158
	v_fma_f32 v112, -0.5, v209, v112
	v_add_f32_e32 v158, v113, v152
	v_fmac_f32_e32 v125, 0x3e9e377a, v122
	v_fmac_f32_e32 v132, 0x3f167918, v159
	;; [unrolled: 1-line block ×4, first 2 shown]
	v_add_f32_e32 v122, v134, v157
	v_fmamk_f32 v134, v159, 0xbf737871, v112
	v_fmac_f32_e32 v112, 0x3f737871, v159
	v_add_f32_e32 v158, v158, v153
	v_fmac_f32_e32 v132, 0x3e9e377a, v115
	v_fmac_f32_e32 v114, 0x3e9e377a, v115
	v_add_f32_e32 v115, v153, v154
	v_fmac_f32_e32 v134, 0x3f167918, v135
	v_fmac_f32_e32 v112, 0xbf167918, v135
	v_add_f32_e32 v135, v158, v154
	v_add_f32_e32 v158, v152, v155
	v_sub_f32_e32 v159, v123, v133
	v_sub_f32_e32 v209, v156, v157
	v_fma_f32 v115, -0.5, v115, v113
	v_sub_f32_e32 v156, v123, v156
	v_fmac_f32_e32 v113, -0.5, v158
	v_sub_f32_e32 v157, v133, v157
	v_add_f32_e32 v159, v159, v209
	v_add_f32_e32 v123, v135, v155
	v_sub_f32_e32 v158, v152, v153
	v_fmamk_f32 v135, v156, 0x3f737871, v113
	v_sub_f32_e32 v152, v153, v152
	v_sub_f32_e32 v153, v154, v155
	v_fmac_f32_e32 v113, 0xbf737871, v156
	v_fmamk_f32 v133, v157, 0xbf737871, v115
	v_fmac_f32_e32 v134, 0x3e9e377a, v159
	v_fmac_f32_e32 v112, 0x3e9e377a, v159
	v_sub_f32_e32 v159, v155, v154
	v_fmac_f32_e32 v115, 0x3f737871, v157
	v_fmac_f32_e32 v135, 0xbf167918, v157
	v_add_f32_e32 v152, v152, v153
	v_fmac_f32_e32 v113, 0x3f167918, v157
	v_fmac_f32_e32 v133, 0xbf167918, v156
	v_add_f32_e32 v154, v158, v159
	v_fmac_f32_e32 v115, 0x3f167918, v156
	v_fmac_f32_e32 v135, 0x3e9e377a, v152
	;; [unrolled: 1-line block ×3, first 2 shown]
	v_add_nc_u32_e32 v152, 0x800, v207
	v_add_nc_u32_e32 v153, 0x1000, v207
	;; [unrolled: 1-line block ×3, first 2 shown]
	v_fmac_f32_e32 v133, 0x3e9e377a, v154
	v_fmac_f32_e32 v115, 0x3e9e377a, v154
	v_add_nc_u32_e32 v154, 0x2800, v207
	ds_write_b64 v205, v[146:147]
	ds_write2_b64 v152, v[142:143], v[150:151] offset0:69 offset1:134
	ds_write2_b64 v153, v[144:145], v[201:202] offset0:138 offset1:203
	;; [unrolled: 1-line block ×5, first 2 shown]
	ds_write_b64 v205, v[219:220] offset:3640
	ds_write_b64 v205, v[221:222] offset:6240
	;; [unrolled: 1-line block ×13, first 2 shown]
	v_add_co_u32 v201, s0, 0x3000, v168
	v_add_co_ci_u32_e64 v202, s0, 0, v169, s0
	v_add_co_u32 v136, s0, 0x32c8, v168
	v_add_co_ci_u32_e64 v137, s0, 0, v169, s0
	v_add_co_u32 v138, s0, 0x3800, v168
	ds_write_b64 v205, v[114:115] offset:12480
	s_waitcnt lgkmcnt(0)
	s_barrier
	buffer_gl0_inv
	s_clause 0x1
	global_load_dwordx2 v[150:151], v[201:202], off offset:712
	global_load_dwordx2 v[203:204], v[136:137], off offset:1000
	v_add_co_ci_u32_e64 v139, s0, 0, v169, s0
	s_clause 0x1
	global_load_dwordx2 v[223:224], v[136:137], off offset:2000
	global_load_dwordx2 v[225:226], v[138:139], off offset:1664
	v_add_co_u32 v138, s0, 0x4000, v168
	v_add_co_ci_u32_e64 v139, s0, 0, v169, s0
	v_add_co_u32 v140, s0, 0x4800, v168
	v_add_co_ci_u32_e64 v141, s0, 0, v169, s0
	s_clause 0x2
	global_load_dwordx2 v[227:228], v[138:139], off offset:616
	global_load_dwordx2 v[229:230], v[138:139], off offset:1616
	;; [unrolled: 1-line block ×3, first 2 shown]
	v_add_co_u32 v138, s0, 0x5000, v168
	v_add_co_ci_u32_e64 v139, s0, 0, v169, s0
	s_clause 0x1
	global_load_dwordx2 v[233:234], v[140:141], off offset:1568
	global_load_dwordx2 v[235:236], v[138:139], off offset:520
	v_add_co_u32 v140, s0, 0x5800, v168
	v_add_co_ci_u32_e64 v141, s0, 0, v169, s0
	s_clause 0x1
	global_load_dwordx2 v[237:238], v[138:139], off offset:1520
	global_load_dwordx2 v[239:240], v[140:141], off offset:472
	;; [unrolled: 5-line block ×3, first 2 shown]
	ds_read2_b64 v[140:143], v205 offset1:125
	v_add_nc_u32_e32 v139, 0x400, v205
	v_add_nc_u32_e32 v138, 0xc00, v205
	;; [unrolled: 1-line block ×3, first 2 shown]
	ds_read2_b64 v[146:149], v139 offset0:122 offset1:247
	ds_read2_b64 v[156:159], v138 offset0:116 offset1:241
	;; [unrolled: 1-line block ×3, first 2 shown]
	s_waitcnt vmcnt(12) lgkmcnt(3)
	v_mul_f32_e32 v145, v141, v151
	v_mul_f32_e32 v246, v140, v151
	s_waitcnt vmcnt(11)
	v_mul_f32_e32 v155, v143, v204
	v_mul_f32_e32 v151, v142, v204
	v_fma_f32 v245, v140, v150, -v145
	v_fmac_f32_e32 v246, v141, v150
	s_waitcnt vmcnt(10) lgkmcnt(2)
	v_mul_f32_e32 v140, v147, v224
	v_mul_f32_e32 v204, v146, v224
	s_waitcnt vmcnt(9)
	v_mul_f32_e32 v141, v149, v226
	v_add_nc_u32_e32 v145, 0x1c00, v205
	v_fma_f32 v150, v142, v203, -v155
	v_fmac_f32_e32 v151, v143, v203
	v_mul_f32_e32 v224, v148, v226
	v_fma_f32 v203, v146, v223, -v140
	v_fmac_f32_e32 v204, v147, v223
	v_fma_f32 v223, v148, v225, -v141
	ds_read2_b64 v[140:143], v145 offset0:104 offset1:229
	v_add_nc_u32_e32 v155, 0x2400, v205
	v_fmac_f32_e32 v224, v149, v225
	s_waitcnt vmcnt(8) lgkmcnt(2)
	v_mul_f32_e32 v225, v157, v228
	v_mul_f32_e32 v226, v156, v228
	s_waitcnt vmcnt(7)
	v_mul_f32_e32 v247, v159, v230
	v_mul_f32_e32 v228, v158, v230
	ds_read2_b64 v[146:149], v155 offset0:98 offset1:223
	v_fma_f32 v225, v156, v227, -v225
	v_fmac_f32_e32 v226, v157, v227
	v_fma_f32 v227, v158, v229, -v247
	v_fmac_f32_e32 v228, v159, v229
	ds_read_b64 v[158:159], v205 offset:12000
	s_waitcnt vmcnt(6) lgkmcnt(3)
	v_mul_f32_e32 v156, v220, v232
	v_mul_f32_e32 v157, v219, v232
	s_waitcnt vmcnt(5)
	v_mul_f32_e32 v229, v222, v234
	v_mul_f32_e32 v230, v221, v234
	ds_write2_b64 v205, v[245:246], v[150:151] offset1:125
	ds_write2_b64 v139, v[203:204], v[223:224] offset0:122 offset1:247
	v_fma_f32 v156, v219, v231, -v156
	v_fmac_f32_e32 v157, v220, v231
	s_waitcnt vmcnt(4) lgkmcnt(4)
	v_mul_f32_e32 v219, v141, v236
	v_fma_f32 v229, v221, v233, -v229
	v_mul_f32_e32 v220, v140, v236
	v_fmac_f32_e32 v230, v222, v233
	s_waitcnt vmcnt(3)
	v_mul_f32_e32 v221, v143, v238
	v_mul_f32_e32 v222, v142, v238
	v_fma_f32 v219, v140, v235, -v219
	s_waitcnt vmcnt(2) lgkmcnt(3)
	v_mul_f32_e32 v140, v147, v240
	v_fmac_f32_e32 v220, v141, v235
	v_fma_f32 v221, v142, v237, -v221
	v_fmac_f32_e32 v222, v143, v237
	v_mul_f32_e32 v141, v146, v240
	s_waitcnt vmcnt(1)
	v_mul_f32_e32 v142, v149, v242
	v_mul_f32_e32 v143, v148, v242
	v_fma_f32 v140, v146, v239, -v140
	s_waitcnt vmcnt(0) lgkmcnt(2)
	v_mul_f32_e32 v146, v159, v244
	v_mul_f32_e32 v150, v158, v244
	v_fmac_f32_e32 v141, v147, v239
	v_fma_f32 v142, v148, v241, -v142
	v_fmac_f32_e32 v143, v149, v241
	v_fma_f32 v149, v158, v243, -v146
	v_fmac_f32_e32 v150, v159, v243
	ds_write2_b64 v138, v[225:226], v[227:228] offset0:116 offset1:241
	ds_write2_b64 v144, v[156:157], v[229:230] offset0:110 offset1:235
	;; [unrolled: 1-line block ×4, first 2 shown]
	ds_write_b64 v205, v[149:150] offset:12000
	s_and_saveexec_b32 s1, vcc_lo
	s_cbranch_execz .LBB0_9
; %bb.8:
	v_add_co_u32 v140, s0, 0x800, v136
	v_add_co_ci_u32_e64 v141, s0, 0, v137, s0
	v_add_co_u32 v142, s0, 0x1000, v136
	v_add_co_ci_u32_e64 v143, s0, 0, v137, s0
	s_clause 0x3
	global_load_dwordx2 v[150:151], v[136:137], off offset:520
	global_load_dwordx2 v[203:204], v[136:137], off offset:1520
	global_load_dwordx2 v[231:232], v[140:141], off offset:472
	global_load_dwordx2 v[233:234], v[140:141], off offset:1472
	v_add_co_u32 v140, s0, 0x1800, v136
	v_add_co_ci_u32_e64 v141, s0, 0, v137, s0
	v_add_co_u32 v146, s0, 0x2000, v136
	v_add_co_ci_u32_e64 v147, s0, 0, v137, s0
	s_clause 0x3
	global_load_dwordx2 v[235:236], v[142:143], off offset:424
	global_load_dwordx2 v[237:238], v[142:143], off offset:1424
	global_load_dwordx2 v[239:240], v[140:141], off offset:376
	global_load_dwordx2 v[241:242], v[140:141], off offset:1376
	;; [unrolled: 9-line block ×3, first 2 shown]
	global_load_dwordx2 v[136:137], v[136:137], off offset:232
	ds_read2_b64 v[140:143], v207 offset0:65 offset1:190
	ds_read2_b64 v[146:149], v152 offset0:59 offset1:184
	v_add_nc_u32_e32 v255, 0x1800, v207
	v_add_nc_u32_e32 v208, 0x2000, v207
	ds_read2_b64 v[156:159], v153 offset0:53 offset1:178
	ds_read2_b64 v[219:222], v255 offset0:47 offset1:172
	;; [unrolled: 1-line block ×4, first 2 shown]
	ds_read_b64 v[253:254], v207 offset:12520
	s_waitcnt vmcnt(12) lgkmcnt(6)
	v_mul_f32_e32 v252, v140, v151
	v_mul_f32_e32 v251, v141, v151
	s_waitcnt vmcnt(11)
	v_mul_f32_e32 v151, v142, v204
	v_mul_f32_e32 v216, v143, v204
	v_fmac_f32_e32 v252, v141, v150
	s_waitcnt vmcnt(10) lgkmcnt(5)
	v_mul_f32_e32 v141, v146, v232
	v_fmac_f32_e32 v151, v143, v203
	s_waitcnt vmcnt(9)
	v_mul_f32_e32 v143, v148, v234
	v_fma_f32 v251, v140, v150, -v251
	v_fma_f32 v150, v142, v203, -v216
	v_mul_f32_e32 v140, v147, v232
	v_mul_f32_e32 v142, v149, v234
	s_waitcnt vmcnt(8) lgkmcnt(4)
	v_mul_f32_e32 v203, v157, v236
	v_mul_f32_e32 v204, v156, v236
	s_waitcnt vmcnt(7)
	v_mul_f32_e32 v216, v159, v238
	v_mul_f32_e32 v232, v158, v238
	s_waitcnt vmcnt(6) lgkmcnt(3)
	v_mul_f32_e32 v178, v220, v240
	v_mul_f32_e32 v234, v219, v240
	s_waitcnt vmcnt(5)
	;; [unrolled: 6-line block ×3, first 2 shown]
	v_mul_f32_e32 v244, v230, v246
	v_fmac_f32_e32 v141, v147, v231
	v_mul_f32_e32 v147, v229, v246
	s_waitcnt vmcnt(2)
	v_mul_f32_e32 v246, v224, v248
	v_fmac_f32_e32 v143, v149, v233
	v_mul_f32_e32 v149, v223, v248
	s_waitcnt vmcnt(1)
	v_mul_f32_e32 v248, v226, v250
	v_mul_f32_e32 v240, v225, v250
	v_fma_f32 v140, v146, v231, -v140
	v_fma_f32 v142, v148, v233, -v142
	s_waitcnt vmcnt(0) lgkmcnt(0)
	v_mul_f32_e32 v250, v254, v137
	v_mul_f32_e32 v242, v253, v137
	v_fma_f32 v203, v156, v235, -v203
	v_fmac_f32_e32 v204, v157, v235
	v_fma_f32 v231, v158, v237, -v216
	v_fmac_f32_e32 v232, v159, v237
	;; [unrolled: 2-line block ×8, first 2 shown]
	ds_write2_b64 v207, v[251:252], v[150:151] offset0:65 offset1:190
	v_fma_f32 v241, v253, v136, -v250
	v_fmac_f32_e32 v242, v254, v136
	ds_write2_b64 v152, v[140:141], v[142:143] offset0:59 offset1:184
	ds_write2_b64 v153, v[203:204], v[231:232] offset0:53 offset1:178
	;; [unrolled: 1-line block ×5, first 2 shown]
	ds_write_b64 v207, v[241:242] offset:12520
.LBB0_9:
	s_or_b32 exec_lo, exec_lo, s1
	s_waitcnt lgkmcnt(0)
	s_barrier
	buffer_gl0_inv
	ds_read2_b64 v[156:159], v205 offset1:125
	ds_read2_b64 v[148:151], v139 offset0:122 offset1:247
	ds_read2_b64 v[140:143], v138 offset0:116 offset1:241
	;; [unrolled: 1-line block ×5, first 2 shown]
	ds_read_b64 v[203:204], v205 offset:12000
	s_and_saveexec_b32 s0, vcc_lo
	s_cbranch_execz .LBB0_11
; %bb.10:
	v_add_nc_u32_e32 v112, 0x800, v207
	v_add_nc_u32_e32 v113, 0x1000, v207
	;; [unrolled: 1-line block ×5, first 2 shown]
	ds_read2_b64 v[116:119], v207 offset0:65 offset1:190
	ds_read2_b64 v[128:131], v112 offset0:59 offset1:184
	;; [unrolled: 1-line block ×6, first 2 shown]
	ds_read_b64 v[199:200], v207 offset:12520
.LBB0_11:
	s_or_b32 exec_lo, exec_lo, s0
	s_waitcnt lgkmcnt(6)
	v_add_f32_e32 v178, v156, v158
	v_add_f32_e32 v208, v157, v159
	s_waitcnt lgkmcnt(0)
	v_sub_f32_e32 v211, v159, v204
	v_add_f32_e32 v216, v204, v159
	v_add_f32_e32 v210, v203, v158
	;; [unrolled: 1-line block ×4, first 2 shown]
	v_sub_f32_e32 v222, v158, v203
	v_mul_f32_e32 v158, 0xbeedf032, v211
	v_mul_f32_e32 v223, 0xbf52af12, v211
	v_add_f32_e32 v178, v178, v150
	v_add_f32_e32 v208, v208, v151
	v_mul_f32_e32 v224, 0x3f116cb1, v216
	v_mul_f32_e32 v225, 0xbf7e222b, v211
	v_fmamk_f32 v228, v210, 0x3f62ad3f, v158
	v_add_f32_e32 v159, v178, v140
	v_add_f32_e32 v178, v208, v141
	v_mul_f32_e32 v208, 0x3f62ad3f, v216
	v_fma_f32 v158, 0x3f62ad3f, v210, -v158
	v_fmamk_f32 v230, v210, 0x3f116cb1, v223
	v_add_f32_e32 v159, v159, v142
	v_add_f32_e32 v178, v178, v143
	v_fmamk_f32 v229, v222, 0x3eedf032, v208
	v_fmac_f32_e32 v208, 0xbeedf032, v222
	v_fmamk_f32 v231, v222, 0x3f52af12, v224
	v_add_f32_e32 v159, v159, v136
	v_add_f32_e32 v178, v178, v137
	v_fmamk_f32 v232, v210, 0x3df6dbef, v225
	v_add_f32_e32 v233, v156, v158
	v_sub_f32_e32 v240, v149, v155
	v_add_f32_e32 v159, v159, v138
	v_add_f32_e32 v178, v178, v139
	v_mul_f32_e32 v226, 0x3df6dbef, v216
	v_mul_f32_e32 v227, 0xbf6f5d39, v211
	;; [unrolled: 1-line block ×3, first 2 shown]
	v_add_f32_e32 v159, v159, v144
	v_add_f32_e32 v178, v178, v145
	v_mul_f32_e32 v236, 0xbf3f9e67, v216
	v_mul_f32_e32 v211, 0xbe750f2a, v211
	v_add_f32_e32 v242, v154, v148
	v_add_f32_e32 v159, v159, v146
	;; [unrolled: 1-line block ×3, first 2 shown]
	v_mul_f32_e32 v243, 0xbf52af12, v240
	v_add_f32_e32 v149, v155, v149
	v_fma_f32 v223, 0x3f116cb1, v210, -v223
	v_add_f32_e32 v158, v159, v152
	v_add_f32_e32 v159, v178, v153
	;; [unrolled: 1-line block ×8, first 2 shown]
	v_mul_f32_e32 v232, 0xbeb58ec6, v216
	v_mul_f32_e32 v216, 0xbf788fa5, v216
	v_fmac_f32_e32 v224, 0xbf52af12, v222
	v_add_f32_e32 v228, v156, v228
	v_add_f32_e32 v158, v158, v203
	v_add_f32_e32 v159, v159, v204
	v_fmamk_f32 v203, v222, 0x3f7e222b, v226
	v_fma_f32 v204, 0x3df6dbef, v210, -v225
	v_fmac_f32_e32 v226, 0xbf7e222b, v222
	v_fmamk_f32 v225, v210, 0xbeb58ec6, v227
	v_fmamk_f32 v234, v222, 0x3f6f5d39, v232
	v_fma_f32 v227, 0xbeb58ec6, v210, -v227
	v_fmac_f32_e32 v232, 0xbf6f5d39, v222
	v_fmamk_f32 v237, v210, 0xbf3f9e67, v235
	;; [unrolled: 4-line block ×3, first 2 shown]
	v_fmamk_f32 v241, v222, 0x3e750f2a, v216
	v_fma_f32 v155, 0xbf788fa5, v210, -v211
	v_fmac_f32_e32 v216, 0xbe750f2a, v222
	v_sub_f32_e32 v148, v148, v154
	v_fmamk_f32 v154, v242, 0x3f116cb1, v243
	v_mul_f32_e32 v210, 0x3f116cb1, v149
	v_add_f32_e32 v229, v157, v229
	v_add_f32_e32 v223, v156, v223
	;; [unrolled: 1-line block ×19, first 2 shown]
	v_fmamk_f32 v157, v148, 0x3f52af12, v210
	v_mul_f32_e32 v216, 0xbf6f5d39, v240
	v_fma_f32 v222, 0x3f116cb1, v242, -v243
	v_fmac_f32_e32 v210, 0xbf52af12, v148
	v_mul_f32_e32 v228, 0xbeb58ec6, v149
	v_add_f32_e32 v157, v157, v229
	v_fmamk_f32 v229, v242, 0xbeb58ec6, v216
	v_add_f32_e32 v222, v222, v233
	v_add_f32_e32 v178, v210, v178
	v_fmamk_f32 v210, v148, 0x3f6f5d39, v228
	v_mul_f32_e32 v233, 0xbe750f2a, v240
	v_add_f32_e32 v208, v229, v208
	v_fma_f32 v216, 0xbeb58ec6, v242, -v216
	v_fmac_f32_e32 v228, 0xbf6f5d39, v148
	v_add_f32_e32 v210, v210, v230
	v_fmamk_f32 v229, v242, 0xbf788fa5, v233
	v_mul_f32_e32 v230, 0xbf788fa5, v149
	v_add_f32_e32 v216, v216, v223
	v_add_f32_e32 v223, v228, v224
	v_mul_f32_e32 v224, 0x3f29c268, v240
	v_add_f32_e32 v228, v229, v231
	v_fmamk_f32 v229, v148, 0x3e750f2a, v230
	v_fmac_f32_e32 v230, 0xbe750f2a, v148
	v_mul_f32_e32 v241, 0xbf3f9e67, v149
	v_fma_f32 v231, 0xbf788fa5, v242, -v233
	v_fmamk_f32 v233, v242, 0xbf3f9e67, v224
	v_add_f32_e32 v203, v229, v203
	v_add_f32_e32 v226, v230, v226
	v_fmamk_f32 v229, v148, 0xbf29c268, v241
	v_mul_f32_e32 v230, 0x3f7e222b, v240
	v_add_f32_e32 v204, v231, v204
	v_add_f32_e32 v225, v233, v225
	v_fma_f32 v224, 0xbf3f9e67, v242, -v224
	v_mul_f32_e32 v231, 0x3df6dbef, v149
	v_add_f32_e32 v229, v229, v234
	v_fmamk_f32 v233, v242, 0x3df6dbef, v230
	v_mul_f32_e32 v234, 0x3eedf032, v240
	v_fma_f32 v230, 0x3df6dbef, v242, -v230
	v_add_f32_e32 v224, v224, v227
	v_fmamk_f32 v227, v148, 0xbf7e222b, v231
	v_add_f32_e32 v233, v233, v237
	v_fmac_f32_e32 v231, 0x3f7e222b, v148
	v_fmamk_f32 v237, v242, 0x3f62ad3f, v234
	v_add_f32_e32 v230, v230, v235
	v_sub_f32_e32 v235, v151, v153
	v_add_f32_e32 v227, v227, v238
	v_mul_f32_e32 v149, 0x3f62ad3f, v149
	v_add_f32_e32 v231, v231, v236
	v_add_f32_e32 v236, v237, v239
	;; [unrolled: 1-line block ×3, first 2 shown]
	v_mul_f32_e32 v239, 0xbf7e222b, v235
	v_add_f32_e32 v151, v153, v151
	v_fmac_f32_e32 v241, 0x3f29c268, v148
	v_fmamk_f32 v237, v148, 0xbeedf032, v149
	v_fma_f32 v153, 0x3f62ad3f, v242, -v234
	v_fmac_f32_e32 v149, 0x3eedf032, v148
	v_sub_f32_e32 v148, v150, v152
	v_fmamk_f32 v150, v238, 0x3df6dbef, v239
	v_mul_f32_e32 v152, 0x3df6dbef, v151
	v_add_f32_e32 v153, v153, v155
	v_add_f32_e32 v149, v149, v156
	v_mul_f32_e32 v155, 0xbe750f2a, v235
	v_add_f32_e32 v150, v150, v154
	v_fmamk_f32 v154, v148, 0x3f7e222b, v152
	v_fma_f32 v156, 0x3df6dbef, v238, -v239
	v_fmac_f32_e32 v152, 0xbf7e222b, v148
	v_mul_f32_e32 v234, 0xbf788fa5, v151
	v_add_f32_e32 v211, v237, v211
	v_add_f32_e32 v154, v154, v157
	v_fmamk_f32 v157, v238, 0xbf788fa5, v155
	v_add_f32_e32 v156, v156, v222
	v_add_f32_e32 v152, v152, v178
	v_fmamk_f32 v178, v148, 0x3e750f2a, v234
	v_mul_f32_e32 v222, 0x3f6f5d39, v235
	v_fma_f32 v155, 0xbf788fa5, v238, -v155
	v_fmac_f32_e32 v234, 0xbe750f2a, v148
	v_add_f32_e32 v157, v157, v208
	v_add_f32_e32 v178, v178, v210
	v_fmamk_f32 v208, v238, 0xbeb58ec6, v222
	v_mul_f32_e32 v210, 0xbeb58ec6, v151
	v_add_f32_e32 v155, v155, v216
	v_add_f32_e32 v216, v234, v223
	v_mul_f32_e32 v223, 0x3eedf032, v235
	v_add_f32_e32 v208, v208, v228
	v_fmamk_f32 v228, v148, 0xbf6f5d39, v210
	v_fma_f32 v222, 0xbeb58ec6, v238, -v222
	v_fmac_f32_e32 v210, 0x3f6f5d39, v148
	v_fmamk_f32 v234, v238, 0x3f62ad3f, v223
	v_mul_f32_e32 v237, 0x3f62ad3f, v151
	v_add_f32_e32 v203, v228, v203
	v_add_f32_e32 v204, v222, v204
	;; [unrolled: 1-line block ×4, first 2 shown]
	v_fmamk_f32 v225, v148, 0xbeedf032, v237
	v_mul_f32_e32 v226, 0xbf52af12, v235
	v_fma_f32 v223, 0x3f62ad3f, v238, -v223
	v_mul_f32_e32 v228, 0x3f116cb1, v151
	v_mul_f32_e32 v234, 0xbf29c268, v235
	v_add_f32_e32 v225, v225, v229
	v_fmamk_f32 v229, v238, 0x3f116cb1, v226
	v_fma_f32 v226, 0x3f116cb1, v238, -v226
	v_add_f32_e32 v223, v223, v224
	v_fmamk_f32 v224, v148, 0x3f52af12, v228
	v_fmac_f32_e32 v228, 0xbf52af12, v148
	v_add_f32_e32 v229, v229, v233
	v_add_f32_e32 v226, v226, v230
	v_sub_f32_e32 v230, v141, v147
	v_mul_f32_e32 v151, 0xbf3f9e67, v151
	v_add_f32_e32 v233, v146, v140
	v_add_f32_e32 v141, v147, v141
	v_fmac_f32_e32 v237, 0x3eedf032, v148
	v_mul_f32_e32 v235, 0xbf6f5d39, v230
	v_add_f32_e32 v228, v228, v231
	v_fmamk_f32 v231, v148, 0x3f29c268, v151
	v_fma_f32 v147, 0xbf3f9e67, v238, -v234
	v_fmac_f32_e32 v151, 0xbf29c268, v148
	v_sub_f32_e32 v140, v140, v146
	v_fmamk_f32 v146, v233, 0xbeb58ec6, v235
	v_mul_f32_e32 v148, 0xbeb58ec6, v141
	v_add_f32_e32 v211, v231, v211
	v_add_f32_e32 v147, v147, v153
	;; [unrolled: 1-line block ×4, first 2 shown]
	v_fmamk_f32 v150, v140, 0x3f6f5d39, v148
	v_mul_f32_e32 v151, 0x3f29c268, v230
	v_fma_f32 v153, 0xbeb58ec6, v233, -v235
	v_fmac_f32_e32 v148, 0xbf6f5d39, v140
	v_mul_f32_e32 v231, 0xbf3f9e67, v141
	v_add_f32_e32 v150, v150, v154
	v_fmamk_f32 v154, v233, 0xbf3f9e67, v151
	v_add_f32_e32 v153, v153, v156
	v_add_f32_e32 v148, v148, v152
	v_fmamk_f32 v152, v140, 0xbf29c268, v231
	v_mul_f32_e32 v156, 0x3eedf032, v230
	v_add_f32_e32 v154, v154, v157
	v_fma_f32 v151, 0xbf3f9e67, v233, -v151
	v_fmac_f32_e32 v231, 0x3f29c268, v140
	v_add_f32_e32 v152, v152, v178
	v_fmamk_f32 v157, v233, 0x3f62ad3f, v156
	v_mul_f32_e32 v178, 0x3f62ad3f, v141
	v_add_f32_e32 v224, v224, v227
	v_fmamk_f32 v227, v238, 0xbf3f9e67, v234
	v_add_f32_e32 v151, v151, v155
	v_add_f32_e32 v155, v231, v216
	v_mul_f32_e32 v216, 0xbf7e222b, v230
	v_add_f32_e32 v157, v157, v208
	v_fmamk_f32 v208, v140, 0xbeedf032, v178
	v_fmac_f32_e32 v178, 0x3eedf032, v140
	v_mul_f32_e32 v234, 0x3df6dbef, v141
	v_fma_f32 v156, 0x3f62ad3f, v233, -v156
	v_fmamk_f32 v231, v233, 0x3df6dbef, v216
	v_add_f32_e32 v203, v208, v203
	v_add_f32_e32 v178, v178, v210
	v_fmamk_f32 v208, v140, 0x3f7e222b, v234
	v_mul_f32_e32 v210, 0x3e750f2a, v230
	v_add_f32_e32 v156, v156, v204
	v_add_f32_e32 v204, v231, v222
	v_fma_f32 v216, 0x3df6dbef, v233, -v216
	v_mul_f32_e32 v222, 0xbf788fa5, v141
	v_add_f32_e32 v208, v208, v225
	v_fmamk_f32 v225, v233, 0xbf788fa5, v210
	v_fma_f32 v210, 0xbf788fa5, v233, -v210
	v_add_f32_e32 v216, v216, v223
	v_fmamk_f32 v223, v140, 0xbe750f2a, v222
	v_mul_f32_e32 v230, 0x3f52af12, v230
	v_fmac_f32_e32 v222, 0x3e750f2a, v140
	v_add_f32_e32 v210, v210, v226
	v_sub_f32_e32 v226, v143, v145
	v_add_f32_e32 v227, v227, v236
	v_add_f32_e32 v225, v225, v229
	;; [unrolled: 1-line block ×3, first 2 shown]
	v_fmamk_f32 v224, v233, 0x3f116cb1, v230
	v_mul_f32_e32 v141, 0x3f116cb1, v141
	v_add_f32_e32 v222, v222, v228
	v_add_f32_e32 v228, v144, v142
	v_mul_f32_e32 v229, 0xbf29c268, v226
	v_add_f32_e32 v143, v145, v143
	v_fmac_f32_e32 v234, 0xbf7e222b, v140
	v_add_f32_e32 v224, v224, v227
	v_fmamk_f32 v227, v140, 0xbf52af12, v141
	v_fma_f32 v145, 0x3f116cb1, v233, -v230
	v_fmac_f32_e32 v141, 0x3f52af12, v140
	v_sub_f32_e32 v140, v142, v144
	v_fmamk_f32 v142, v228, 0xbf3f9e67, v229
	v_mul_f32_e32 v144, 0xbf3f9e67, v143
	v_add_f32_e32 v211, v227, v211
	v_add_f32_e32 v145, v145, v147
	v_add_f32_e32 v141, v141, v149
	v_add_f32_e32 v142, v142, v146
	v_fmamk_f32 v146, v140, 0x3f29c268, v144
	v_mul_f32_e32 v147, 0x3f7e222b, v226
	v_fma_f32 v149, 0xbf3f9e67, v228, -v229
	v_fmac_f32_e32 v144, 0xbf29c268, v140
	v_mul_f32_e32 v227, 0x3df6dbef, v143
	v_add_f32_e32 v146, v146, v150
	v_fmamk_f32 v150, v228, 0x3df6dbef, v147
	v_add_f32_e32 v149, v149, v153
	v_add_f32_e32 v144, v144, v148
	v_fmamk_f32 v148, v140, 0xbf7e222b, v227
	v_mul_f32_e32 v153, 0xbf52af12, v226
	v_fma_f32 v147, 0x3df6dbef, v228, -v147
	v_fmac_f32_e32 v227, 0x3f7e222b, v140
	v_add_f32_e32 v150, v150, v154
	v_add_f32_e32 v148, v148, v152
	v_fmamk_f32 v152, v228, 0x3f116cb1, v153
	v_mul_f32_e32 v154, 0x3f116cb1, v143
	v_add_f32_e32 v147, v147, v151
	v_add_f32_e32 v151, v227, v155
	v_mul_f32_e32 v155, 0x3e750f2a, v226
	v_add_f32_e32 v152, v152, v157
	v_fmamk_f32 v157, v140, 0x3f52af12, v154
	v_fma_f32 v153, 0x3f116cb1, v228, -v153
	v_fmac_f32_e32 v154, 0xbf52af12, v140
	v_fmamk_f32 v227, v228, 0xbf788fa5, v155
	v_mul_f32_e32 v229, 0xbf788fa5, v143
	v_add_f32_e32 v232, v241, v232
	v_add_f32_e32 v157, v157, v203
	;; [unrolled: 1-line block ×5, first 2 shown]
	v_fmamk_f32 v178, v140, 0xbe750f2a, v229
	v_mul_f32_e32 v203, 0x3eedf032, v226
	v_fma_f32 v155, 0xbf788fa5, v228, -v155
	v_mul_f32_e32 v204, 0x3f62ad3f, v143
	v_add_f32_e32 v232, v237, v232
	v_add_f32_e32 v178, v178, v208
	v_fmamk_f32 v208, v228, 0x3f62ad3f, v203
	v_add_f32_e32 v155, v155, v216
	v_fmamk_f32 v216, v140, 0xbeedf032, v204
	v_mul_f32_e32 v226, 0xbf6f5d39, v226
	v_fma_f32 v203, 0x3f62ad3f, v228, -v203
	v_add_f32_e32 v231, v234, v232
	v_fmac_f32_e32 v229, 0x3e750f2a, v140
	v_add_f32_e32 v216, v216, v223
	v_fmac_f32_e32 v204, 0x3eedf032, v140
	v_fmamk_f32 v223, v228, 0xbeb58ec6, v226
	v_mul_f32_e32 v143, 0xbeb58ec6, v143
	v_add_f32_e32 v203, v203, v210
	v_sub_f32_e32 v210, v137, v139
	v_add_f32_e32 v227, v229, v231
	v_add_f32_e32 v208, v208, v225
	v_add_f32_e32 v204, v204, v222
	v_add_f32_e32 v222, v223, v224
	v_fmamk_f32 v223, v140, 0x3f6f5d39, v143
	v_add_f32_e32 v224, v138, v136
	v_mul_f32_e32 v225, 0xbe750f2a, v210
	v_add_f32_e32 v229, v139, v137
	v_fmac_f32_e32 v143, 0xbf6f5d39, v140
	v_fma_f32 v137, 0xbeb58ec6, v228, -v226
	v_sub_f32_e32 v226, v136, v138
	v_fmamk_f32 v136, v224, 0xbf788fa5, v225
	v_mul_f32_e32 v139, 0xbf788fa5, v229
	v_add_f32_e32 v228, v143, v141
	v_mul_f32_e32 v143, 0x3f62ad3f, v229
	v_add_f32_e32 v211, v223, v211
	v_add_f32_e32 v223, v137, v145
	;; [unrolled: 1-line block ×3, first 2 shown]
	v_fmamk_f32 v137, v226, 0x3e750f2a, v139
	v_mul_f32_e32 v141, 0x3eedf032, v210
	v_fma_f32 v138, 0xbf788fa5, v224, -v225
	v_fmac_f32_e32 v139, 0xbe750f2a, v226
	v_fmamk_f32 v142, v226, 0xbeedf032, v143
	v_mul_f32_e32 v145, 0xbf29c268, v210
	v_add_f32_e32 v137, v137, v146
	v_fmamk_f32 v140, v224, 0x3f62ad3f, v141
	v_add_f32_e32 v138, v138, v149
	v_add_f32_e32 v139, v139, v144
	v_fma_f32 v144, 0x3f62ad3f, v224, -v141
	v_fmac_f32_e32 v143, 0x3eedf032, v226
	v_add_f32_e32 v141, v142, v148
	v_fmamk_f32 v146, v224, 0xbf3f9e67, v145
	v_mul_f32_e32 v148, 0xbf3f9e67, v229
	v_mul_f32_e32 v149, 0x3f52af12, v210
	v_add_f32_e32 v140, v140, v150
	v_add_f32_e32 v142, v144, v147
	;; [unrolled: 1-line block ×4, first 2 shown]
	v_fmamk_f32 v146, v226, 0x3f29c268, v148
	v_fma_f32 v147, 0xbf3f9e67, v224, -v145
	v_fmac_f32_e32 v148, 0xbf29c268, v226
	v_fmamk_f32 v150, v224, 0x3f116cb1, v149
	v_mul_f32_e32 v151, 0x3f116cb1, v229
	v_add_f32_e32 v145, v146, v157
	v_add_f32_e32 v146, v147, v153
	;; [unrolled: 1-line block ×4, first 2 shown]
	v_fmamk_f32 v150, v226, 0xbf52af12, v151
	v_mul_f32_e32 v152, 0xbf6f5d39, v210
	v_fma_f32 v153, 0x3f116cb1, v224, -v149
	v_mul_f32_e32 v156, 0xbeb58ec6, v229
	v_mul_f32_e32 v157, 0x3f7e222b, v210
	v_add_f32_e32 v149, v150, v178
	v_fmamk_f32 v154, v224, 0xbeb58ec6, v152
	v_add_f32_e32 v150, v153, v155
	v_fma_f32 v155, 0xbeb58ec6, v224, -v152
	v_mul_f32_e32 v178, 0x3df6dbef, v229
	v_fmamk_f32 v153, v226, 0x3f6f5d39, v156
	v_add_f32_e32 v152, v154, v208
	v_fmac_f32_e32 v156, 0xbf6f5d39, v226
	v_add_f32_e32 v154, v155, v203
	v_fmamk_f32 v203, v224, 0x3df6dbef, v157
	v_fmamk_f32 v208, v226, 0xbf7e222b, v178
	v_fma_f32 v210, 0x3df6dbef, v224, -v157
	v_fmac_f32_e32 v178, 0x3f7e222b, v226
	v_fmac_f32_e32 v151, 0x3f52af12, v226
	v_add_nc_u32_e32 v220, 0x410, v205
	v_add_nc_u32_e32 v219, 0x618, v205
	;; [unrolled: 1-line block ×3, first 2 shown]
	v_add_f32_e32 v153, v153, v216
	v_add_f32_e32 v155, v156, v204
	;; [unrolled: 1-line block ×7, first 2 shown]
	s_barrier
	buffer_gl0_inv
	ds_write2_b64 v218, v[158:159], v[136:137] offset1:1
	ds_write2_b64 v218, v[140:141], v[144:145] offset0:2 offset1:3
	ds_write2_b64 v218, v[148:149], v[152:153] offset0:4 offset1:5
	;; [unrolled: 1-line block ×5, first 2 shown]
	ds_write_b64 v218, v[138:139] offset:96
	s_and_saveexec_b32 s0, vcc_lo
	s_cbranch_execz .LBB0_13
; %bb.12:
	v_add_f32_e32 v144, v119, v117
	v_add_f32_e32 v146, v118, v116
	v_sub_f32_e32 v142, v118, v199
	v_sub_f32_e32 v136, v128, v114
	;; [unrolled: 1-line block ×3, first 2 shown]
	v_add_f32_e32 v147, v129, v144
	v_add_f32_e32 v146, v128, v146
	;; [unrolled: 1-line block ×8, first 2 shown]
	v_sub_f32_e32 v130, v125, v135
	v_add_f32_e32 v145, v200, v119
	v_add_f32_e32 v147, v125, v147
	;; [unrolled: 1-line block ×4, first 2 shown]
	v_sub_f32_e32 v149, v119, v200
	v_sub_f32_e32 v119, v126, v132
	v_add_f32_e32 v147, v127, v147
	v_add_f32_e32 v146, v126, v146
	v_sub_f32_e32 v127, v127, v133
	v_add_f32_e32 v138, v113, v131
	v_mul_f32_e32 v140, 0xbf788fa5, v145
	v_add_f32_e32 v125, v121, v147
	v_add_f32_e32 v146, v120, v146
	v_sub_f32_e32 v131, v131, v113
	v_mul_f32_e32 v147, 0xbf3f9e67, v145
	v_mul_f32_e32 v156, 0x3df6dbef, v145
	v_add_f32_e32 v153, v123, v125
	v_add_f32_e32 v146, v122, v146
	v_add_f32_e32 v125, v132, v126
	v_sub_f32_e32 v139, v124, v134
	v_fmamk_f32 v148, v142, 0x3e750f2a, v140
	v_add_f32_e32 v133, v133, v153
	v_add_f32_e32 v132, v132, v146
	v_mul_f32_e32 v146, 0xbeb58ec6, v145
	v_add_f32_e32 v124, v134, v124
	v_fmamk_f32 v126, v142, 0x3f29c268, v147
	v_add_f32_e32 v133, v135, v133
	v_add_f32_e32 v132, v134, v132
	v_fmamk_f32 v134, v142, 0x3f6f5d39, v146
	v_fmac_f32_e32 v140, 0xbe750f2a, v142
	v_fmac_f32_e32 v147, 0xbf29c268, v142
	v_add_f32_e32 v113, v113, v133
	v_add_f32_e32 v112, v112, v132
	v_mul_f32_e32 v133, 0x3f116cb1, v145
	v_mul_f32_e32 v145, 0x3f62ad3f, v145
	v_fmac_f32_e32 v146, 0xbf6f5d39, v142
	v_add_f32_e32 v209, v115, v129
	v_add_f32_e32 v112, v114, v112
	v_fmamk_f32 v114, v142, 0x3f7e222b, v156
	v_fmamk_f32 v157, v142, 0x3f52af12, v133
	;; [unrolled: 1-line block ×3, first 2 shown]
	v_fmac_f32_e32 v156, 0xbf7e222b, v142
	v_fmac_f32_e32 v133, 0xbf52af12, v142
	;; [unrolled: 1-line block ×3, first 2 shown]
	v_mul_f32_e32 v142, 0xbf52af12, v149
	v_mul_f32_e32 v151, 0xbe750f2a, v149
	;; [unrolled: 1-line block ×3, first 2 shown]
	v_add_f32_e32 v0, v117, v133
	v_sub_f32_e32 v129, v129, v115
	v_fmamk_f32 v159, v150, 0x3f116cb1, v142
	v_fma_f32 v142, 0x3f116cb1, v150, -v142
	v_fmamk_f32 v152, v150, 0xbf788fa5, v151
	v_mul_f32_e32 v153, 0xbf6f5d39, v149
	v_fmamk_f32 v155, v150, 0xbf3f9e67, v154
	v_mul_f32_e32 v132, 0xbf7e222b, v149
	v_mul_f32_e32 v149, 0xbeedf032, v149
	buffer_store_dword v0, off, s[16:19], 0 offset:52 ; 4-byte Folded Spill
	v_add_f32_e32 v0, v116, v142
	v_mul_f32_e32 v142, 0x3f62ad3f, v209
	v_fmamk_f32 v135, v150, 0xbeb58ec6, v153
	v_add_f32_e32 v113, v115, v113
	v_fmamk_f32 v115, v150, 0x3df6dbef, v132
	v_fma_f32 v151, 0xbf788fa5, v150, -v151
	v_fma_f32 v154, 0xbf3f9e67, v150, -v154
	;; [unrolled: 1-line block ×4, first 2 shown]
	v_fmamk_f32 v178, v150, 0x3f62ad3f, v149
	v_fma_f32 v149, 0x3f62ad3f, v150, -v149
	v_add_f32_e32 v148, v117, v148
	v_add_f32_e32 v150, v116, v152
	;; [unrolled: 1-line block ×4, first 2 shown]
	v_mul_f32_e32 v222, 0xbf3f9e67, v138
	v_fmamk_f32 v114, v136, 0xbeedf032, v142
	v_mul_f32_e32 v223, 0x3eedf032, v129
	v_add_f32_e32 v135, v116, v135
	v_add_f32_e32 v203, v116, v115
	;; [unrolled: 1-line block ×8, first 2 shown]
	buffer_store_dword v0, off, s[16:19], 0 offset:44 ; 4-byte Folded Spill
	v_add_f32_e32 v0, v116, v149
	v_mul_f32_e32 v225, 0x3f116cb1, v143
	v_fmamk_f32 v115, v141, 0x3f29c268, v222
	v_add_f32_e32 v114, v114, v148
	v_fmamk_f32 v116, v118, 0x3f62ad3f, v223
	v_mul_f32_e32 v148, 0xbf29c268, v131
	v_add_f32_e32 v126, v117, v126
	v_add_f32_e32 v134, v117, v134
	;; [unrolled: 1-line block ×10, first 2 shown]
	v_fmamk_f32 v117, v139, 0xbf52af12, v225
	v_add_f32_e32 v114, v115, v114
	v_add_f32_e32 v115, v116, v150
	v_fmamk_f32 v116, v128, 0xbf3f9e67, v148
	v_mul_f32_e32 v150, 0x3f52af12, v130
	v_add_f32_e32 v112, v199, v112
	v_mul_f32_e32 v199, 0xbeb58ec6, v144
	v_sub_f32_e32 v216, v120, v122
	v_add_f32_e32 v113, v200, v113
	v_add_f32_e32 v114, v117, v114
	;; [unrolled: 1-line block ×3, first 2 shown]
	v_fmamk_f32 v116, v124, 0x3f116cb1, v150
	v_mul_f32_e32 v200, 0xbf6f5d39, v127
	v_fmamk_f32 v117, v119, 0x3f6f5d39, v199
	v_mul_f32_e32 v226, 0x3df6dbef, v211
	v_mul_f32_e32 v227, 0x3df6dbef, v209
	v_add_f32_e32 v224, v122, v120
	v_add_f32_e32 v115, v116, v115
	v_fmamk_f32 v116, v125, 0xbeb58ec6, v200
	v_add_f32_e32 v114, v117, v114
	v_fmamk_f32 v117, v216, 0xbf7e222b, v226
	v_fmamk_f32 v120, v136, 0xbf7e222b, v227
	v_mul_f32_e32 v228, 0x3f116cb1, v138
	v_mul_f32_e32 v229, 0x3f7e222b, v129
	v_sub_f32_e32 v218, v121, v123
	v_add_f32_e32 v116, v116, v115
	v_add_f32_e32 v115, v117, v114
	;; [unrolled: 1-line block ×3, first 2 shown]
	v_fmamk_f32 v117, v141, 0x3f52af12, v228
	v_mul_f32_e32 v230, 0xbf788fa5, v143
	v_fmamk_f32 v120, v118, 0x3df6dbef, v229
	v_mul_f32_e32 v232, 0xbf52af12, v131
	v_mul_f32_e32 v231, 0x3f7e222b, v218
	v_add_f32_e32 v114, v117, v114
	v_fmamk_f32 v117, v139, 0xbe750f2a, v230
	v_add_f32_e32 v120, v120, v152
	v_mul_f32_e32 v152, 0x3f62ad3f, v144
	v_fmamk_f32 v121, v128, 0x3f116cb1, v232
	v_mul_f32_e32 v233, 0x3e750f2a, v130
	v_fmamk_f32 v122, v224, 0x3df6dbef, v231
	v_add_f32_e32 v117, v117, v114
	v_fmamk_f32 v123, v119, 0xbeedf032, v152
	v_add_f32_e32 v120, v121, v120
	v_fmamk_f32 v121, v124, 0xbf788fa5, v233
	v_mul_f32_e32 v234, 0xbf3f9e67, v209
	v_add_f32_e32 v114, v122, v116
	v_mul_f32_e32 v235, 0x3eedf032, v127
	v_add_f32_e32 v116, v123, v117
	v_add_f32_e32 v117, v121, v120
	v_fmamk_f32 v120, v136, 0xbf29c268, v234
	v_mul_f32_e32 v236, 0x3f62ad3f, v138
	v_fmamk_f32 v121, v125, 0x3f62ad3f, v235
	v_mul_f32_e32 v237, 0xbeb58ec6, v211
	v_mul_f32_e32 v238, 0xbf6f5d39, v218
	v_add_f32_e32 v120, v120, v134
	v_fmamk_f32 v122, v141, 0xbeedf032, v236
	v_mul_f32_e32 v239, 0x3df6dbef, v143
	v_add_f32_e32 v121, v121, v117
	v_fmamk_f32 v117, v216, 0x3f6f5d39, v237
	v_fmamk_f32 v123, v224, 0xbeb58ec6, v238
	v_add_f32_e32 v120, v122, v120
	v_fmamk_f32 v122, v139, 0x3f7e222b, v239
	v_mul_f32_e32 v134, 0x3f29c268, v129
	v_mul_f32_e32 v240, 0xbf788fa5, v144
	v_add_f32_e32 v117, v117, v116
	v_add_f32_e32 v116, v123, v121
	;; [unrolled: 1-line block ×3, first 2 shown]
	v_fmamk_f32 v121, v118, 0xbf3f9e67, v134
	v_fmamk_f32 v122, v119, 0xbe750f2a, v240
	v_mul_f32_e32 v241, 0x3eedf032, v131
	v_mul_f32_e32 v242, 0xbf7e222b, v130
	;; [unrolled: 1-line block ×3, first 2 shown]
	v_add_f32_e32 v121, v121, v135
	v_add_f32_e32 v120, v122, v120
	v_fmamk_f32 v122, v128, 0x3f62ad3f, v241
	v_mul_f32_e32 v244, 0x3f116cb1, v211
	v_mul_f32_e32 v245, 0x3f52af12, v218
	v_mul_f32_e32 v246, 0xbf788fa5, v209
	v_mul_f32_e32 v247, 0x3f62ad3f, v143
	v_add_f32_e32 v121, v122, v121
	v_fmamk_f32 v122, v124, 0x3df6dbef, v242
	v_mul_f32_e32 v248, 0xbe750f2a, v129
	v_mul_f32_e32 v249, 0x3f6f5d39, v131
	v_mul_f32_e32 v250, 0x3eedf032, v130
	v_mul_f32_e32 v251, 0xbf52af12, v127
	;; [unrolled: 6-line block ×3, first 2 shown]
	v_add_f32_e32 v122, v122, v121
	v_fmamk_f32 v121, v216, 0xbf52af12, v244
	v_mov_b32_e32 v3, v219
	v_mul_f32_e32 v219, 0xbf6f5d39, v129
	v_mov_b32_e32 v2, v220
	v_mul_f32_e32 v220, 0xbe750f2a, v131
	v_add_f32_e32 v121, v121, v120
	v_fmamk_f32 v120, v224, 0x3f116cb1, v245
	v_mul_f32_e32 v221, 0x3f29c268, v130
	v_mov_b32_e32 v151, v212
	v_mul_f32_e32 v212, 0x3f7e222b, v127
	v_mov_b32_e32 v154, v213
	v_add_f32_e32 v120, v120, v122
	v_fmamk_f32 v122, v136, 0x3e750f2a, v246
	v_mul_f32_e32 v213, 0x3f62ad3f, v211
	v_mov_b32_e32 v149, v214
	v_mul_f32_e32 v214, 0x3eedf032, v218
	v_mov_b32_e32 v153, v207
	v_add_f32_e32 v122, v122, v155
	v_mul_f32_e32 v155, 0xbeb58ec6, v138
	v_mov_b32_e32 v207, v206
	v_mov_b32_e32 v206, v160
	v_mul_f32_e32 v160, 0x3f116cb1, v209
	v_mov_b32_e32 v209, v161
	v_fmamk_f32 v123, v141, 0xbf6f5d39, v155
	v_mul_f32_e32 v161, 0xbeb58ec6, v143
	buffer_store_dword v0, off, s[16:19], 0 offset:48 ; 4-byte Folded Spill
	v_mov_b32_e32 v0, v215
	v_mul_f32_e32 v215, 0xbf52af12, v129
	v_add_f32_e32 v122, v123, v122
	v_fmamk_f32 v123, v139, 0xbeedf032, v247
	v_mul_f32_e32 v131, 0xbf7e222b, v131
	v_mov_b32_e32 v1, v217
	v_fmamk_f32 v129, v118, 0x3f116cb1, v215
	v_mul_f32_e32 v217, 0xbf6f5d39, v130
	v_add_f32_e32 v122, v123, v122
	v_fmamk_f32 v123, v118, 0xbf788fa5, v248
	v_mul_f32_e32 v211, 0xbf788fa5, v211
	v_add_f32_e32 v129, v129, v178
	;; [unrolled: 3-line block ×3, first 2 shown]
	v_mul_f32_e32 v203, 0x3f116cb1, v144
	v_mul_f32_e32 v218, 0xbe750f2a, v218
	v_fmac_f32_e32 v142, 0x3eedf032, v136
	v_fmamk_f32 v127, v125, 0xbf3f9e67, v178
	v_fmac_f32_e32 v222, 0xbf29c268, v141
	v_fmamk_f32 v126, v119, 0x3f52af12, v203
	v_fmac_f32_e32 v225, 0x3f52af12, v139
	v_fmac_f32_e32 v199, 0xbf6f5d39, v119
	;; [unrolled: 1-line block ×4, first 2 shown]
	v_add_f32_e32 v122, v126, v122
	v_fmamk_f32 v126, v128, 0xbeb58ec6, v249
	v_fmac_f32_e32 v234, 0x3f29c268, v136
	v_fma_f32 v134, 0xbf3f9e67, v118, -v134
	v_fmac_f32_e32 v236, 0x3eedf032, v141
	v_fmac_f32_e32 v239, 0xbf7e222b, v139
	v_add_f32_e32 v123, v126, v123
	v_fmamk_f32 v126, v124, 0x3f62ad3f, v250
	v_add_f32_e32 v134, v134, v208
	v_fmac_f32_e32 v240, 0x3e750f2a, v119
	v_fmac_f32_e32 v244, 0x3f52af12, v216
	;; [unrolled: 1-line block ×3, first 2 shown]
	v_add_f32_e32 v123, v126, v123
	v_fmamk_f32 v126, v125, 0x3f116cb1, v251
	v_fmac_f32_e32 v228, 0xbf52af12, v141
	v_fmac_f32_e32 v155, 0x3f6f5d39, v141
	v_add_f32_e32 v143, v246, v156
	v_fmac_f32_e32 v230, 0x3e750f2a, v139
	v_add_f32_e32 v126, v126, v123
	v_fmamk_f32 v123, v216, 0x3f29c268, v252
	v_fmac_f32_e32 v247, 0x3eedf032, v139
	v_add_f32_e32 v143, v155, v143
	v_fmac_f32_e32 v152, 0x3eedf032, v119
	v_fmac_f32_e32 v203, 0xbf52af12, v119
	v_add_f32_e32 v123, v123, v122
	v_fmamk_f32 v122, v224, 0xbf3f9e67, v253
	v_add_f32_e32 v143, v247, v143
	v_fmac_f32_e32 v237, 0xbf6f5d39, v216
	v_fmac_f32_e32 v252, 0xbf29c268, v216
	v_add_f32_e32 v122, v122, v126
	v_fmamk_f32 v126, v136, 0x3f6f5d39, v254
	v_fmac_f32_e32 v254, 0xbf6f5d39, v136
	v_add_f32_e32 v143, v203, v143
	v_add_f32_e32 v126, v126, v157
	v_mul_f32_e32 v157, 0xbf788fa5, v138
	v_add_f32_e32 v143, v252, v143
	v_fmamk_f32 v132, v141, 0x3e750f2a, v157
	v_fmac_f32_e32 v157, 0xbe750f2a, v141
	v_add_f32_e32 v126, v132, v126
	v_fmamk_f32 v132, v139, 0xbf29c268, v255
	v_fmac_f32_e32 v255, 0x3f29c268, v139
	v_add_f32_e32 v126, v132, v126
	v_fmamk_f32 v132, v118, 0xbeb58ec6, v219
	v_add_f32_e32 v132, v132, v159
	v_mul_f32_e32 v159, 0x3df6dbef, v144
	v_mul_f32_e32 v144, 0xbf3f9e67, v144
	v_fmamk_f32 v133, v119, 0xbf7e222b, v159
	v_fmac_f32_e32 v159, 0x3f7e222b, v119
	v_add_f32_e32 v126, v133, v126
	v_fmamk_f32 v133, v128, 0xbf788fa5, v220
	v_add_f32_e32 v132, v133, v132
	v_fmamk_f32 v133, v124, 0xbf3f9e67, v221
	;; [unrolled: 2-line block ×4, first 2 shown]
	v_fmac_f32_e32 v213, 0x3eedf032, v216
	v_add_f32_e32 v133, v133, v126
	v_fmamk_f32 v126, v224, 0x3f62ad3f, v214
	v_add_f32_e32 v132, v126, v132
	v_fmamk_f32 v126, v136, 0x3f52af12, v160
	v_fmac_f32_e32 v160, 0xbf52af12, v136
	v_add_f32_e32 v126, v126, v158
	v_mul_f32_e32 v158, 0x3df6dbef, v138
	v_fma_f32 v138, 0x3f116cb1, v128, -v232
	v_add_f32_e32 v145, v160, v145
	v_fmamk_f32 v135, v141, 0x3f7e222b, v158
	v_fmac_f32_e32 v158, 0xbf7e222b, v141
	v_add_f32_e32 v126, v135, v126
	v_fmamk_f32 v135, v139, 0x3f6f5d39, v161
	v_fmac_f32_e32 v161, 0xbf6f5d39, v139
	v_lshl_add_u32 v139, v206, 3, v209
	v_add_nc_u32_e32 v209, 0x820, v205
	v_mov_b32_e32 v206, v207
	v_add_f32_e32 v126, v135, v126
	v_fmamk_f32 v135, v119, 0x3f29c268, v144
	v_fmac_f32_e32 v144, 0xbf29c268, v119
	v_fma_f32 v119, 0xbf3f9e67, v125, -v178
	v_mov_b32_e32 v207, v153
	v_add_f32_e32 v126, v135, v126
	v_fmamk_f32 v135, v128, 0x3df6dbef, v131
	v_add_f32_e32 v129, v135, v129
	v_fma_f32 v135, 0xbf3f9e67, v128, -v148
	v_fma_f32 v148, 0x3f116cb1, v125, -v251
	v_add_f32_e32 v129, v130, v129
	v_fma_f32 v130, 0x3f62ad3f, v118, -v223
	v_add_f32_e32 v129, v127, v129
	v_fmamk_f32 v127, v216, 0x3e750f2a, v211
	v_add_f32_e32 v130, v130, v137
	v_fma_f32 v137, 0x3df6dbef, v224, -v231
	v_fmac_f32_e32 v211, 0xbe750f2a, v216
	v_add_f32_e32 v127, v127, v126
	v_fmamk_f32 v126, v224, 0xbf788fa5, v218
	v_add_f32_e32 v130, v135, v130
	v_fma_f32 v135, 0x3f116cb1, v124, -v150
	v_add_f32_e32 v126, v126, v129
	v_add_f32_e32 v129, v142, v140
	;; [unrolled: 1-line block ×3, first 2 shown]
	v_fma_f32 v135, 0xbeb58ec6, v125, -v200
	v_fma_f32 v140, 0x3f62ad3f, v128, -v241
	;; [unrolled: 1-line block ×3, first 2 shown]
	v_add_f32_e32 v129, v222, v129
	v_add_f32_e32 v135, v135, v130
	;; [unrolled: 1-line block ×3, first 2 shown]
	v_fma_f32 v134, 0xbeb58ec6, v224, -v238
	v_add_f32_e32 v129, v225, v129
	v_add_f32_e32 v129, v199, v129
	v_add_f32_e32 v130, v226, v129
	v_add_f32_e32 v129, v137, v135
	v_add_f32_e32 v135, v227, v147
	buffer_load_dword v147, off, s[16:19], 0 offset:52 ; 4-byte Folded Reload
	v_fma_f32 v137, 0x3df6dbef, v118, -v229
	v_add_f32_e32 v135, v228, v135
	v_add_f32_e32 v137, v137, v204
	;; [unrolled: 1-line block ×4, first 2 shown]
	v_fma_f32 v138, 0xbf788fa5, v124, -v233
	v_add_f32_e32 v135, v152, v135
	v_add_f32_e32 v137, v138, v137
	v_fma_f32 v138, 0x3f62ad3f, v125, -v235
	v_add_f32_e32 v135, v237, v135
	v_add_f32_e32 v137, v138, v137
	v_add_f32_e32 v138, v234, v146
	v_fma_f32 v146, 0x3f116cb1, v224, -v245
	v_add_f32_e32 v134, v134, v137
	v_add_f32_e32 v138, v236, v138
	;; [unrolled: 1-line block ×4, first 2 shown]
	v_fma_f32 v140, 0xbf788fa5, v125, -v243
	v_fma_f32 v142, 0xbf788fa5, v118, -v248
	v_add_f32_e32 v137, v240, v137
	v_add_f32_e32 v140, v140, v138
	;; [unrolled: 1-line block ×3, first 2 shown]
	v_fma_f32 v142, 0xbeb58ec6, v128, -v249
	v_add_f32_e32 v138, v142, v138
	v_fma_f32 v142, 0x3f62ad3f, v124, -v250
	v_add_f32_e32 v142, v142, v138
	v_add_f32_e32 v138, v244, v137
	v_add_f32_e32 v142, v148, v142
	s_waitcnt vmcnt(0)
	v_add_f32_e32 v147, v254, v147
	v_add_f32_e32 v137, v157, v147
	v_fma_f32 v147, 0xbf3f9e67, v224, -v253
	v_add_f32_e32 v148, v255, v137
	v_add_f32_e32 v137, v146, v140
	v_fma_f32 v140, 0xbeb58ec6, v118, -v219
	v_fma_f32 v118, 0x3f116cb1, v118, -v215
	v_mov_b32_e32 v215, v0
	buffer_load_dword v0, off, s[16:19], 0 offset:44 ; 4-byte Folded Reload
	v_add_f32_e32 v146, v159, v148
	v_mov_b32_e32 v219, v3
	v_add_f32_e32 v142, v147, v142
	s_waitcnt vmcnt(0)
	v_add_f32_e32 v136, v140, v0
	buffer_load_dword v0, off, s[16:19], 0 offset:48 ; 4-byte Folded Reload
	v_fma_f32 v140, 0xbf788fa5, v128, -v220
	v_fma_f32 v128, 0x3df6dbef, v128, -v131
	v_mov_b32_e32 v220, v2
	v_add_f32_e32 v131, v140, v136
	v_fma_f32 v136, 0xbf3f9e67, v124, -v221
	v_add_f32_e32 v140, v158, v145
	v_fma_f32 v124, 0xbeb58ec6, v124, -v217
	v_mov_b32_e32 v217, v1
	s_waitcnt vmcnt(0)
	v_add_f32_e32 v118, v118, v0
	v_add_f32_e32 v118, v128, v118
	;; [unrolled: 1-line block ×3, first 2 shown]
	v_fma_f32 v131, 0x3df6dbef, v125, -v212
	v_add_f32_e32 v136, v161, v140
	v_mov_b32_e32 v212, v151
	v_add_f32_e32 v118, v124, v118
	v_fma_f32 v125, 0x3f62ad3f, v224, -v214
	v_add_f32_e32 v124, v131, v128
	v_mov_b32_e32 v214, v149
	v_add_f32_e32 v128, v144, v136
	v_add_f32_e32 v131, v119, v118
	v_fma_f32 v136, 0xbf788fa5, v224, -v218
	v_add_f32_e32 v119, v213, v146
	v_mov_b32_e32 v213, v154
	v_add_f32_e32 v118, v125, v124
	v_add_f32_e32 v125, v211, v128
	;; [unrolled: 1-line block ×3, first 2 shown]
	ds_write2_b64 v139, v[112:113], v[126:127] offset1:1
	ds_write2_b64 v139, v[132:133], v[122:123] offset0:2 offset1:3
	ds_write2_b64 v139, v[120:121], v[116:117] offset0:4 offset1:5
	;; [unrolled: 1-line block ×5, first 2 shown]
	ds_write_b64 v139, v[124:125] offset:96
.LBB0_13:
	s_or_b32 exec_lo, exec_lo, s0
	v_add_nc_u32_e32 v127, 0x800, v205
	v_add_nc_u32_e32 v124, 0x1000, v205
	;; [unrolled: 1-line block ×5, first 2 shown]
	s_waitcnt lgkmcnt(0)
	s_waitcnt_vscnt null, 0x0
	s_barrier
	buffer_gl0_inv
	ds_read2_b64 v[112:115], v127 offset0:4 offset1:69
	ds_read2_b64 v[129:132], v124 offset0:138 offset1:203
	;; [unrolled: 1-line block ×3, first 2 shown]
	ds_read2_b64 v[120:123], v205 offset1:65
	ds_read2_b64 v[116:119], v205 offset0:130 offset1:195
	ds_read2_b64 v[137:140], v125 offset0:20 offset1:85
	ds_read_b64 v[157:158], v205 offset:12480
	ds_read2_b64 v[141:144], v127 offset0:134 offset1:199
	ds_read2_b64 v[145:148], v126 offset0:16 offset1:81
	;; [unrolled: 1-line block ×6, first 2 shown]
	s_clause 0x3
	buffer_load_dword v0, off, s[16:19], 0 offset:24
	buffer_load_dword v1, off, s[16:19], 0 offset:28
	;; [unrolled: 1-line block ×4, first 2 shown]
	s_waitcnt vmcnt(0) lgkmcnt(0)
	s_barrier
	buffer_gl0_inv
	s_mov_b32 s4, 0x6615bd85
	s_mov_b32 s5, 0x3f442a38
	s_mul_hi_u32 s1, s8, 0x7d
	v_mul_f32_e32 v159, v17, v115
	v_mul_f32_e32 v160, v19, v130
	;; [unrolled: 1-line block ×6, first 2 shown]
	v_fmac_f32_e32 v160, v18, v129
	v_fma_f32 v18, v18, v130, -v19
	v_fmac_f32_e32 v161, v4, v135
	v_fma_f32 v19, v4, v136, -v5
	v_mul_f32_e32 v5, v7, v138
	v_mul_f32_e32 v4, v7, v137
	v_fmac_f32_e32 v159, v16, v114
	v_fma_f32 v17, v16, v115, -v17
	v_mul_f32_e32 v114, v29, v142
	v_mul_f32_e32 v7, v29, v141
	v_mul_f32_e32 v29, v31, v132
	v_fmac_f32_e32 v5, v6, v137
	v_fma_f32 v115, v6, v138, -v4
	v_mul_f32_e32 v4, v31, v131
	v_mul_f32_e32 v6, v25, v145
	v_fmac_f32_e32 v114, v28, v141
	v_fma_f32 v28, v28, v142, -v7
	v_fmac_f32_e32 v29, v30, v131
	v_mul_f32_e32 v31, v25, v146
	v_mul_f32_e32 v25, v27, v140
	;; [unrolled: 1-line block ×3, first 2 shown]
	v_fma_f32 v27, v30, v132, -v4
	v_fma_f32 v30, v24, v146, -v6
	v_mul_f32_e32 v129, v37, v144
	v_mul_f32_e32 v4, v37, v143
	v_mul_f32_e32 v37, v39, v150
	v_mul_f32_e32 v6, v39, v149
	v_fmac_f32_e32 v25, v26, v139
	v_fmac_f32_e32 v129, v36, v143
	v_fma_f32 v36, v36, v144, -v4
	v_fmac_f32_e32 v37, v38, v149
	v_fma_f32 v38, v38, v150, -v6
	v_mul_f32_e32 v4, v33, v147
	v_mul_f32_e32 v6, v35, v153
	v_fma_f32 v26, v26, v140, -v7
	v_mul_f32_e32 v130, v35, v154
	v_mul_f32_e32 v7, v21, v222
	v_fma_f32 v35, v32, v148, -v4
	v_fma_f32 v132, v34, v154, -v6
	v_mul_f32_e32 v4, v23, v151
	v_mul_f32_e32 v6, v13, v226
	v_fma_f32 v135, v20, v223, -v7
	v_mul_f32_e32 v137, v13, v227
	v_mul_f32_e32 v138, v15, v156
	v_fma_f32 v139, v22, v152, -v4
	v_fma_f32 v140, v12, v227, -v6
	v_mul_f32_e32 v4, v15, v155
	v_mul_f32_e32 v6, v9, v224
	;; [unrolled: 1-line block ×3, first 2 shown]
	v_fmac_f32_e32 v137, v12, v226
	v_fmac_f32_e32 v138, v14, v155
	v_fma_f32 v141, v14, v156, -v4
	v_fma_f32 v12, v8, v225, -v6
	;; [unrolled: 1-line block ×3, first 2 shown]
	v_add_f32_e32 v7, v120, v159
	v_mul_f32_e32 v131, v21, v223
	v_mul_f32_e32 v16, v9, v225
	;; [unrolled: 1-line block ×3, first 2 shown]
	v_add_f32_e32 v4, v160, v161
	v_sub_f32_e32 v9, v17, v115
	v_fmac_f32_e32 v131, v20, v222
	v_fmac_f32_e32 v16, v8, v224
	;; [unrolled: 1-line block ×3, first 2 shown]
	v_sub_f32_e32 v8, v159, v160
	v_sub_f32_e32 v10, v5, v161
	v_add_f32_e32 v11, v159, v5
	v_mul_f32_e32 v136, v23, v152
	v_sub_f32_e32 v23, v115, v19
	v_fmac_f32_e32 v31, v24, v145
	v_add_f32_e32 v21, v8, v10
	v_mul_f32_e32 v39, v33, v148
	v_fmac_f32_e32 v136, v22, v151
	v_add_f32_e32 v22, v18, v19
	v_add_f32_e32 v33, v114, v25
	v_fmac_f32_e32 v130, v34, v153
	v_fmac_f32_e32 v39, v32, v147
	v_sub_f32_e32 v32, v25, v31
	v_sub_f32_e32 v24, v28, v26
	v_add_f32_e32 v34, v27, v30
	v_mul_f32_e32 v14, v1, v229
	v_mul_f32_e32 v6, v1, v228
	v_fma_f32 v1, -0.5, v4, v120
	v_mul_f32_e32 v134, v3, v158
	v_mul_f32_e32 v3, v3, v157
	v_fmac_f32_e32 v14, v0, v228
	v_fma_f32 v0, v0, v229, -v6
	v_add_f32_e32 v6, v7, v160
	v_fmamk_f32 v4, v9, 0xbf737871, v1
	v_sub_f32_e32 v7, v18, v19
	v_fmac_f32_e32 v1, 0x3f737871, v9
	v_fmac_f32_e32 v134, v2, v157
	v_add_f32_e32 v20, v6, v161
	v_fma_f32 v6, -0.5, v11, v120
	v_fmac_f32_e32 v4, 0xbf167918, v7
	v_fma_f32 v3, v2, v158, -v3
	v_sub_f32_e32 v2, v160, v159
	v_add_f32_e32 v10, v20, v5
	v_add_f32_e32 v20, v121, v17
	v_fmamk_f32 v8, v7, 0x3f737871, v6
	v_sub_f32_e32 v11, v161, v5
	v_fmac_f32_e32 v1, 0x3f167918, v7
	v_fmac_f32_e32 v6, 0xbf737871, v7
	v_add_f32_e32 v7, v20, v18
	v_fmac_f32_e32 v8, 0xbf167918, v9
	v_add_f32_e32 v11, v2, v11
	v_fma_f32 v2, -0.5, v22, v121
	v_sub_f32_e32 v20, v159, v5
	v_fmac_f32_e32 v6, 0x3f167918, v9
	v_add_f32_e32 v9, v7, v19
	v_add_f32_e32 v7, v17, v115
	v_sub_f32_e32 v22, v17, v18
	v_fmac_f32_e32 v4, 0x3e9e377a, v21
	v_fmac_f32_e32 v1, 0x3e9e377a, v21
	v_fmamk_f32 v5, v20, 0x3f737871, v2
	v_sub_f32_e32 v21, v160, v161
	v_fma_f32 v7, -0.5, v7, v121
	v_add_f32_e32 v22, v22, v23
	v_fmac_f32_e32 v2, 0xbf737871, v20
	v_add_f32_e32 v23, v122, v114
	v_fmac_f32_e32 v8, 0x3e9e377a, v11
	v_fmac_f32_e32 v6, 0x3e9e377a, v11
	v_add_f32_e32 v11, v9, v115
	v_fmac_f32_e32 v5, 0x3f167918, v21
	v_fmamk_f32 v9, v21, 0xbf737871, v7
	v_sub_f32_e32 v17, v18, v17
	v_sub_f32_e32 v18, v19, v115
	v_add_f32_e32 v19, v29, v31
	v_fmac_f32_e32 v2, 0xbf167918, v21
	v_fmac_f32_e32 v7, 0x3f737871, v21
	v_add_f32_e32 v21, v23, v29
	v_fmac_f32_e32 v5, 0x3e9e377a, v22
	v_fmac_f32_e32 v9, 0x3f167918, v20
	v_add_f32_e32 v18, v17, v18
	v_fma_f32 v17, -0.5, v19, v122
	v_fmac_f32_e32 v2, 0x3e9e377a, v22
	v_sub_f32_e32 v22, v27, v30
	v_sub_f32_e32 v23, v114, v29
	v_fmac_f32_e32 v7, 0xbf167918, v20
	v_add_f32_e32 v20, v21, v31
	v_fma_f32 v122, -0.5, v33, v122
	v_fmac_f32_e32 v9, 0x3e9e377a, v18
	v_add_f32_e32 v32, v23, v32
	v_fmac_f32_e32 v7, 0x3e9e377a, v18
	v_add_f32_e32 v21, v20, v25
	v_fmamk_f32 v23, v22, 0x3f737871, v122
	v_sub_f32_e32 v18, v29, v114
	v_sub_f32_e32 v20, v31, v25
	v_add_f32_e32 v33, v123, v28
	v_fmac_f32_e32 v122, 0xbf737871, v22
	v_fmamk_f32 v19, v24, 0xbf737871, v17
	v_fmac_f32_e32 v17, 0x3f737871, v24
	v_fmac_f32_e32 v23, 0xbf167918, v24
	v_add_f32_e32 v115, v18, v20
	v_add_f32_e32 v20, v33, v27
	v_fma_f32 v18, -0.5, v34, v123
	v_sub_f32_e32 v33, v114, v25
	v_fmac_f32_e32 v122, 0x3f167918, v24
	v_add_f32_e32 v24, v28, v26
	v_sub_f32_e32 v29, v29, v31
	v_sub_f32_e32 v25, v28, v27
	;; [unrolled: 1-line block ×3, first 2 shown]
	v_fmac_f32_e32 v19, 0xbf167918, v22
	v_fmac_f32_e32 v17, 0x3f167918, v22
	v_add_f32_e32 v22, v20, v30
	v_fmamk_f32 v20, v33, 0x3f737871, v18
	v_fmac_f32_e32 v123, -0.5, v24
	v_add_f32_e32 v31, v25, v31
	v_fmac_f32_e32 v18, 0xbf737871, v33
	v_sub_f32_e32 v25, v27, v28
	v_add_f32_e32 v28, v116, v129
	v_add_f32_e32 v22, v22, v26
	v_fmac_f32_e32 v20, 0x3f167918, v29
	v_fmamk_f32 v24, v29, 0xbf737871, v123
	v_sub_f32_e32 v26, v30, v26
	v_fmac_f32_e32 v18, 0xbf167918, v29
	v_fmac_f32_e32 v123, 0x3f737871, v29
	v_add_f32_e32 v28, v28, v37
	v_fmac_f32_e32 v20, 0x3e9e377a, v31
	v_add_f32_e32 v27, v37, v39
	;; [unrolled: 2-line block ×3, first 2 shown]
	v_fmac_f32_e32 v18, 0x3e9e377a, v31
	v_sub_f32_e32 v29, v129, v37
	v_sub_f32_e32 v31, v130, v39
	v_add_f32_e32 v34, v129, v130
	v_fmac_f32_e32 v123, 0xbf167918, v33
	v_add_f32_e32 v28, v28, v39
	v_fmac_f32_e32 v19, 0x3e9e377a, v32
	v_fmac_f32_e32 v17, 0x3e9e377a, v32
	;; [unrolled: 1-line block ×4, first 2 shown]
	v_fma_f32 v25, -0.5, v27, v116
	v_sub_f32_e32 v30, v36, v132
	v_fmac_f32_e32 v24, 0x3e9e377a, v26
	v_sub_f32_e32 v32, v38, v35
	v_add_f32_e32 v114, v29, v31
	v_fma_f32 v29, -0.5, v34, v116
	v_fmac_f32_e32 v123, 0x3e9e377a, v26
	v_add_f32_e32 v31, v28, v130
	v_sub_f32_e32 v26, v37, v129
	v_sub_f32_e32 v28, v39, v130
	v_add_f32_e32 v34, v117, v36
	v_add_f32_e32 v115, v38, v35
	v_fmamk_f32 v27, v30, 0xbf737871, v25
	v_fmac_f32_e32 v25, 0x3f737871, v30
	v_fmamk_f32 v33, v32, 0x3f737871, v29
	v_add_f32_e32 v116, v26, v28
	v_fmac_f32_e32 v29, 0xbf737871, v32
	v_add_f32_e32 v28, v34, v38
	v_fma_f32 v26, -0.5, v115, v117
	v_sub_f32_e32 v115, v129, v130
	v_fmac_f32_e32 v27, 0xbf167918, v32
	v_fmac_f32_e32 v25, 0x3f167918, v32
	;; [unrolled: 1-line block ×4, first 2 shown]
	v_add_f32_e32 v32, v28, v35
	v_fmamk_f32 v28, v115, 0x3f737871, v26
	v_add_f32_e32 v30, v36, v132
	v_sub_f32_e32 v37, v37, v39
	v_sub_f32_e32 v34, v36, v38
	;; [unrolled: 1-line block ×3, first 2 shown]
	v_fmac_f32_e32 v26, 0xbf737871, v115
	v_fmac_f32_e32 v27, 0x3e9e377a, v114
	;; [unrolled: 1-line block ×3, first 2 shown]
	v_fma_f32 v30, -0.5, v30, v117
	v_fmac_f32_e32 v28, 0x3f167918, v37
	v_add_f32_e32 v39, v34, v39
	v_sub_f32_e32 v36, v38, v36
	v_sub_f32_e32 v35, v35, v132
	v_add_f32_e32 v38, v136, v137
	v_fmac_f32_e32 v26, 0xbf167918, v37
	v_add_f32_e32 v114, v118, v131
	v_fmamk_f32 v34, v37, 0xbf737871, v30
	v_fmac_f32_e32 v28, 0x3e9e377a, v39
	v_add_f32_e32 v36, v36, v35
	v_fma_f32 v35, -0.5, v38, v118
	v_sub_f32_e32 v38, v135, v141
	v_fmac_f32_e32 v26, 0x3e9e377a, v39
	v_fmac_f32_e32 v30, 0x3f737871, v37
	v_add_f32_e32 v39, v114, v136
	v_add_f32_e32 v120, v131, v138
	v_fmac_f32_e32 v33, 0x3e9e377a, v116
	v_fmac_f32_e32 v29, 0x3e9e377a, v116
	;; [unrolled: 1-line block ×3, first 2 shown]
	v_fmamk_f32 v37, v38, 0xbf737871, v35
	v_sub_f32_e32 v117, v139, v140
	v_sub_f32_e32 v114, v131, v136
	v_sub_f32_e32 v116, v138, v137
	v_fmac_f32_e32 v30, 0xbf167918, v115
	v_add_f32_e32 v39, v39, v137
	v_fma_f32 v118, -0.5, v120, v118
	v_fmac_f32_e32 v35, 0x3f737871, v38
	v_add_f32_e32 v120, v119, v135
	v_fmac_f32_e32 v34, 0x3e9e377a, v36
	v_fmac_f32_e32 v37, 0xbf167918, v117
	v_add_f32_e32 v115, v114, v116
	v_fmac_f32_e32 v30, 0x3e9e377a, v36
	v_add_f32_e32 v114, v39, v138
	v_fmamk_f32 v116, v117, 0x3f737871, v118
	v_sub_f32_e32 v36, v136, v131
	v_sub_f32_e32 v39, v137, v138
	v_fmac_f32_e32 v35, 0x3f167918, v117
	v_add_f32_e32 v121, v139, v140
	v_fmac_f32_e32 v118, 0xbf737871, v117
	v_add_f32_e32 v117, v120, v139
	v_fmac_f32_e32 v37, 0x3e9e377a, v115
	v_fmac_f32_e32 v116, 0xbf167918, v38
	v_add_f32_e32 v39, v36, v39
	v_fma_f32 v36, -0.5, v121, v119
	v_sub_f32_e32 v121, v131, v138
	v_fmac_f32_e32 v35, 0x3e9e377a, v115
	v_fmac_f32_e32 v118, 0x3f167918, v38
	v_add_f32_e32 v115, v117, v140
	v_add_f32_e32 v117, v135, v141
	v_sub_f32_e32 v129, v135, v139
	v_sub_f32_e32 v130, v141, v140
	v_fmac_f32_e32 v116, 0x3e9e377a, v39
	v_fmamk_f32 v38, v121, 0x3f737871, v36
	v_sub_f32_e32 v120, v136, v137
	v_fmac_f32_e32 v118, 0x3e9e377a, v39
	v_fmac_f32_e32 v119, -0.5, v117
	v_add_f32_e32 v39, v129, v130
	v_fmac_f32_e32 v36, 0xbf737871, v121
	v_sub_f32_e32 v129, v139, v135
	v_sub_f32_e32 v130, v140, v141
	v_add_f32_e32 v131, v15, v14
	v_add_f32_e32 v32, v32, v132
	v_fmac_f32_e32 v38, 0x3f167918, v120
	v_fmamk_f32 v117, v120, 0xbf737871, v119
	v_fmac_f32_e32 v36, 0xbf167918, v120
	v_add_f32_e32 v130, v129, v130
	v_fmac_f32_e32 v119, 0x3f737871, v120
	v_add_f32_e32 v129, v112, v16
	v_fma_f32 v120, -0.5, v131, v112
	v_sub_f32_e32 v132, v12, v3
	v_fmac_f32_e32 v38, 0x3e9e377a, v39
	v_fmac_f32_e32 v117, 0x3f167918, v121
	;; [unrolled: 1-line block ×4, first 2 shown]
	v_add_f32_e32 v39, v129, v15
	v_fmamk_f32 v129, v132, 0xbf737871, v120
	v_sub_f32_e32 v121, v13, v0
	v_sub_f32_e32 v131, v16, v15
	;; [unrolled: 1-line block ×3, first 2 shown]
	v_fmac_f32_e32 v120, 0x3f737871, v132
	v_add_f32_e32 v135, v16, v134
	v_add_f32_e32 v39, v39, v14
	v_fmac_f32_e32 v129, 0xbf167918, v121
	v_add_f32_e32 v133, v131, v133
	v_fmac_f32_e32 v120, 0x3f167918, v121
	v_fma_f32 v112, -0.5, v135, v112
	v_fmac_f32_e32 v117, 0x3e9e377a, v130
	v_fmac_f32_e32 v119, 0x3e9e377a, v130
	v_add_f32_e32 v131, v39, v134
	v_fmac_f32_e32 v129, 0x3e9e377a, v133
	v_fmac_f32_e32 v120, 0x3e9e377a, v133
	v_fmamk_f32 v133, v121, 0x3f737871, v112
	v_add_f32_e32 v39, v13, v0
	v_sub_f32_e32 v130, v15, v16
	v_sub_f32_e32 v135, v14, v134
	v_fmac_f32_e32 v112, 0xbf737871, v121
	v_add_f32_e32 v136, v113, v12
	v_sub_f32_e32 v16, v16, v134
	v_add_f32_e32 v134, v12, v3
	v_fma_f32 v121, -0.5, v39, v113
	v_fmac_f32_e32 v133, 0xbf167918, v132
	v_add_f32_e32 v39, v130, v135
	v_fmac_f32_e32 v112, 0x3f167918, v132
	v_add_f32_e32 v132, v136, v13
	v_sub_f32_e32 v14, v15, v14
	v_fmac_f32_e32 v113, -0.5, v134
	v_fmac_f32_e32 v133, 0x3e9e377a, v39
	v_fmac_f32_e32 v112, 0x3e9e377a, v39
	v_add_f32_e32 v15, v132, v0
	v_sub_f32_e32 v39, v12, v13
	v_sub_f32_e32 v132, v3, v0
	v_fmamk_f32 v134, v14, 0xbf737871, v113
	v_sub_f32_e32 v12, v13, v12
	v_sub_f32_e32 v0, v0, v3
	v_fmac_f32_e32 v113, 0x3f737871, v14
	ds_write2_b64 v212, v[10:11], v[4:5] offset1:13
	ds_write2_b64 v212, v[8:9], v[6:7] offset0:26 offset1:39
	ds_write_b64 v212, v[1:2] offset:416
	ds_write2_b64 v213, v[21:22], v[19:20] offset1:13
	ds_write2_b64 v213, v[23:24], v[122:123] offset0:26 offset1:39
	ds_write_b64 v213, v[17:18] offset:416
	v_fmac_f32_e32 v134, 0x3f167918, v16
	v_fmamk_f32 v130, v16, 0x3f737871, v121
	v_add_f32_e32 v0, v12, v0
	v_fmac_f32_e32 v113, 0xbf167918, v16
	v_fmac_f32_e32 v121, 0xbf737871, v16
	v_add_f32_e32 v13, v39, v132
	v_fmac_f32_e32 v130, 0x3f167918, v14
	v_fmac_f32_e32 v134, 0x3e9e377a, v0
	;; [unrolled: 1-line block ×3, first 2 shown]
	buffer_load_dword v0, off, s[16:19], 0 offset:20 ; 4-byte Folded Reload
	v_add_f32_e32 v115, v115, v141
	v_fmac_f32_e32 v121, 0xbf167918, v14
	v_add_f32_e32 v132, v15, v3
	v_fmac_f32_e32 v130, 0x3e9e377a, v13
	s_waitcnt vmcnt(0)
	ds_write2_b64 v0, v[31:32], v[27:28] offset1:13
	ds_write2_b64 v0, v[33:34], v[29:30] offset0:26 offset1:39
	ds_write_b64 v0, v[25:26] offset:416
	buffer_load_dword v0, off, s[16:19], 0 offset:16 ; 4-byte Folded Reload
	v_fmac_f32_e32 v121, 0x3e9e377a, v13
	s_waitcnt vmcnt(0)
	ds_write2_b64 v0, v[114:115], v[37:38] offset1:13
	ds_write2_b64 v0, v[116:117], v[118:119] offset0:26 offset1:39
	ds_write_b64 v0, v[35:36] offset:416
	ds_write2_b64 v214, v[131:132], v[129:130] offset1:13
	ds_write2_b64 v214, v[133:134], v[112:113] offset0:26 offset1:39
	ds_write_b64 v214, v[120:121] offset:416
	s_waitcnt lgkmcnt(0)
	s_barrier
	buffer_gl0_inv
	ds_read2_b64 v[0:3], v127 offset0:4 offset1:69
	ds_read2_b64 v[12:15], v124 offset0:138 offset1:203
	ds_read2_b64 v[16:19], v128 offset0:142 offset1:207
	ds_read2_b64 v[8:11], v205 offset1:65
	ds_read2_b64 v[20:23], v125 offset0:20 offset1:85
	ds_read2_b64 v[24:27], v127 offset0:134 offset1:199
	;; [unrolled: 1-line block ×8, first 2 shown]
	ds_read_b64 v[120:121], v205 offset:12480
	s_waitcnt lgkmcnt(0)
	s_barrier
	buffer_gl0_inv
	v_mul_f32_e32 v122, v69, v3
	v_mul_f32_e32 v123, v71, v13
	;; [unrolled: 1-line block ×5, first 2 shown]
	v_fmac_f32_e32 v122, v68, v2
	v_mul_f32_e32 v2, v69, v2
	v_mul_f32_e32 v133, v69, v25
	v_fmac_f32_e32 v123, v70, v12
	v_fma_f32 v129, v70, v13, -v129
	v_fmac_f32_e32 v130, v64, v18
	v_fma_f32 v132, v68, v3, -v2
	v_mul_f32_e32 v2, v67, v20
	v_mul_f32_e32 v3, v69, v24
	;; [unrolled: 1-line block ×3, first 2 shown]
	v_fmac_f32_e32 v133, v68, v24
	v_fma_f32 v131, v64, v19, -v131
	v_fma_f32 v134, v66, v21, -v2
	;; [unrolled: 1-line block ×3, first 2 shown]
	v_mul_f32_e32 v2, v71, v14
	v_mul_f32_e32 v71, v65, v29
	;; [unrolled: 1-line block ×4, first 2 shown]
	v_fmac_f32_e32 v69, v70, v14
	v_mul_f32_e32 v65, v67, v23
	v_mul_f32_e32 v12, v67, v22
	v_fma_f32 v67, v70, v15, -v2
	v_fmac_f32_e32 v71, v64, v28
	v_fma_f32 v64, v64, v29, -v3
	v_mul_f32_e32 v70, v61, v27
	v_mul_f32_e32 v2, v61, v26
	;; [unrolled: 1-line block ×5, first 2 shown]
	v_fmac_f32_e32 v70, v60, v26
	v_fma_f32 v60, v60, v27, -v2
	v_fmac_f32_e32 v61, v62, v32
	v_fma_f32 v62, v62, v33, -v3
	v_mul_f32_e32 v2, v57, v30
	v_mul_f32_e32 v57, v59, v37
	;; [unrolled: 1-line block ×3, first 2 shown]
	v_fmac_f32_e32 v13, v66, v20
	v_fmac_f32_e32 v65, v66, v22
	v_fma_f32 v66, v66, v23, -v12
	v_fmac_f32_e32 v63, v56, v30
	v_mul_f32_e32 v59, v53, v113
	v_mul_f32_e32 v12, v53, v112
	v_fma_f32 v53, v56, v31, -v2
	v_fmac_f32_e32 v57, v58, v36
	v_fma_f32 v56, v58, v37, -v3
	v_mul_f32_e32 v58, v55, v35
	v_mul_f32_e32 v2, v55, v34
	;; [unrolled: 1-line block ×3, first 2 shown]
	v_fmac_f32_e32 v59, v52, v112
	v_fma_f32 v52, v52, v113, -v12
	v_fmac_f32_e32 v58, v54, v34
	v_fma_f32 v54, v54, v35, -v2
	v_fma_f32 v113, v44, v117, -v3
	v_mul_f32_e32 v2, v47, v38
	v_mul_f32_e32 v3, v49, v114
	;; [unrolled: 1-line block ×5, first 2 shown]
	v_fma_f32 v49, v46, v39, -v2
	v_fma_f32 v18, v48, v115, -v3
	;; [unrolled: 1-line block ×3, first 2 shown]
	v_add_f32_e32 v2, v123, v130
	v_mul_f32_e32 v3, v41, v118
	v_add_f32_e32 v12, v8, v122
	v_sub_f32_e32 v15, v132, v134
	v_add_f32_e32 v24, v122, v13
	v_fma_f32 v2, -0.5, v2, v8
	v_fma_f32 v22, v40, v119, -v3
	v_add_f32_e32 v3, v12, v123
	v_fmac_f32_e32 v20, v50, v16
	v_sub_f32_e32 v17, v129, v131
	v_fmamk_f32 v12, v15, 0xbf737871, v2
	v_sub_f32_e32 v14, v122, v123
	v_sub_f32_e32 v16, v13, v130
	v_mul_f32_e32 v25, v43, v120
	v_add_f32_e32 v3, v3, v130
	v_fma_f32 v8, -0.5, v24, v8
	v_fmac_f32_e32 v2, 0x3f737871, v15
	v_add_f32_e32 v27, v9, v132
	v_fmac_f32_e32 v12, 0xbf167918, v17
	v_add_f32_e32 v26, v14, v16
	v_fma_f32 v24, v42, v121, -v25
	v_add_f32_e32 v16, v3, v13
	v_fmamk_f32 v14, v17, 0x3f737871, v8
	v_sub_f32_e32 v3, v123, v122
	v_sub_f32_e32 v25, v130, v13
	v_fmac_f32_e32 v2, 0x3f167918, v17
	v_add_f32_e32 v28, v129, v131
	v_fmac_f32_e32 v8, 0xbf737871, v17
	v_add_f32_e32 v17, v27, v129
	v_fmac_f32_e32 v14, 0xbf167918, v15
	v_add_f32_e32 v25, v3, v25
	v_fma_f32 v3, -0.5, v28, v9
	v_sub_f32_e32 v28, v122, v13
	v_fmac_f32_e32 v8, 0x3f167918, v15
	v_add_f32_e32 v15, v17, v131
	v_add_f32_e32 v17, v132, v134
	v_fmac_f32_e32 v12, 0x3e9e377a, v26
	v_fmac_f32_e32 v2, 0x3e9e377a, v26
	v_fmamk_f32 v13, v28, 0x3f737871, v3
	v_sub_f32_e32 v26, v123, v130
	v_sub_f32_e32 v27, v132, v129
	;; [unrolled: 1-line block ×3, first 2 shown]
	v_fma_f32 v9, -0.5, v17, v9
	v_fmac_f32_e32 v3, 0xbf737871, v28
	v_add_f32_e32 v31, v10, v133
	v_fmac_f32_e32 v14, 0x3e9e377a, v25
	v_fmac_f32_e32 v8, 0x3e9e377a, v25
	v_add_f32_e32 v17, v15, v134
	v_fmac_f32_e32 v13, 0x3f167918, v26
	v_add_f32_e32 v27, v27, v29
	v_fmamk_f32 v15, v26, 0xbf737871, v9
	v_sub_f32_e32 v25, v129, v132
	v_sub_f32_e32 v29, v131, v134
	v_add_f32_e32 v30, v69, v71
	v_fmac_f32_e32 v3, 0xbf167918, v26
	v_fmac_f32_e32 v9, 0x3f737871, v26
	v_add_f32_e32 v26, v31, v69
	v_fmac_f32_e32 v15, 0x3f167918, v28
	v_add_f32_e32 v29, v25, v29
	v_fma_f32 v25, -0.5, v30, v10
	v_sub_f32_e32 v30, v68, v66
	v_sub_f32_e32 v31, v133, v69
	;; [unrolled: 1-line block ×3, first 2 shown]
	v_add_f32_e32 v34, v133, v65
	v_fmac_f32_e32 v9, 0xbf167918, v28
	v_add_f32_e32 v26, v26, v71
	v_fmac_f32_e32 v13, 0x3e9e377a, v27
	v_fmac_f32_e32 v3, 0x3e9e377a, v27
	;; [unrolled: 1-line block ×3, first 2 shown]
	v_fmamk_f32 v27, v30, 0xbf737871, v25
	v_sub_f32_e32 v32, v67, v64
	v_add_f32_e32 v28, v31, v33
	v_fma_f32 v10, -0.5, v34, v10
	v_fmac_f32_e32 v9, 0x3e9e377a, v29
	v_add_f32_e32 v29, v26, v65
	v_fmac_f32_e32 v25, 0x3f737871, v30
	v_sub_f32_e32 v26, v69, v133
	v_sub_f32_e32 v33, v71, v65
	v_add_f32_e32 v34, v11, v68
	v_add_f32_e32 v35, v67, v64
	v_fmac_f32_e32 v27, 0xbf167918, v32
	v_fmamk_f32 v31, v32, 0x3f737871, v10
	v_fmac_f32_e32 v25, 0x3f167918, v32
	v_add_f32_e32 v33, v26, v33
	v_fmac_f32_e32 v10, 0xbf737871, v32
	v_add_f32_e32 v32, v34, v67
	v_fma_f32 v26, -0.5, v35, v11
	v_sub_f32_e32 v34, v133, v65
	v_fmac_f32_e32 v27, 0x3e9e377a, v28
	v_fmac_f32_e32 v31, 0xbf167918, v30
	;; [unrolled: 1-line block ×4, first 2 shown]
	v_add_f32_e32 v30, v32, v64
	v_fmamk_f32 v28, v34, 0x3f737871, v26
	v_add_f32_e32 v32, v68, v66
	v_sub_f32_e32 v35, v69, v71
	v_sub_f32_e32 v36, v68, v67
	;; [unrolled: 1-line block ×3, first 2 shown]
	v_fmac_f32_e32 v26, 0xbf737871, v34
	v_mul_f32_e32 v112, v47, v39
	v_fmac_f32_e32 v11, -0.5, v32
	v_fmac_f32_e32 v28, 0x3f167918, v35
	v_add_f32_e32 v36, v36, v37
	v_fmac_f32_e32 v26, 0xbf167918, v35
	v_add_f32_e32 v39, v4, v70
	v_fmac_f32_e32 v112, v46, v38
	v_fmac_f32_e32 v21, v48, v114
	v_mul_f32_e32 v114, v43, v121
	v_fmac_f32_e32 v31, 0x3e9e377a, v33
	v_fmac_f32_e32 v10, 0x3e9e377a, v33
	v_fmamk_f32 v32, v35, 0xbf737871, v11
	v_sub_f32_e32 v33, v67, v68
	v_sub_f32_e32 v37, v64, v66
	v_fmac_f32_e32 v28, 0x3e9e377a, v36
	v_add_f32_e32 v38, v61, v63
	v_fmac_f32_e32 v26, 0x3e9e377a, v36
	v_fmac_f32_e32 v11, 0x3f737871, v35
	v_add_f32_e32 v36, v39, v61
	v_mul_f32_e32 v23, v41, v119
	v_fmac_f32_e32 v114, v42, v120
	v_fmac_f32_e32 v32, 0x3f167918, v34
	v_add_f32_e32 v37, v33, v37
	v_fma_f32 v33, -0.5, v38, v4
	v_sub_f32_e32 v38, v60, v56
	v_sub_f32_e32 v39, v70, v61
	v_sub_f32_e32 v41, v57, v63
	v_add_f32_e32 v42, v70, v57
	v_fmac_f32_e32 v11, 0xbf167918, v34
	v_add_f32_e32 v34, v36, v63
	v_fmac_f32_e32 v23, v40, v118
	v_fmac_f32_e32 v32, 0x3e9e377a, v37
	v_fmamk_f32 v35, v38, 0xbf737871, v33
	v_sub_f32_e32 v40, v62, v53
	v_add_f32_e32 v36, v39, v41
	v_fma_f32 v4, -0.5, v42, v4
	v_fmac_f32_e32 v11, 0x3e9e377a, v37
	v_add_f32_e32 v37, v34, v57
	v_fmac_f32_e32 v33, 0x3f737871, v38
	v_sub_f32_e32 v34, v61, v70
	v_sub_f32_e32 v41, v63, v57
	v_add_f32_e32 v42, v5, v60
	v_add_f32_e32 v43, v62, v53
	v_mul_f32_e32 v55, v45, v117
	v_fmac_f32_e32 v35, 0xbf167918, v40
	v_fmamk_f32 v39, v40, 0x3f737871, v4
	v_fmac_f32_e32 v33, 0x3f167918, v40
	v_add_f32_e32 v41, v34, v41
	v_fmac_f32_e32 v4, 0xbf737871, v40
	v_add_f32_e32 v40, v42, v62
	v_fma_f32 v34, -0.5, v43, v5
	v_sub_f32_e32 v42, v70, v57
	v_fmac_f32_e32 v55, v44, v116
	v_fmac_f32_e32 v35, 0x3e9e377a, v36
	;; [unrolled: 1-line block ×3, first 2 shown]
	v_sub_f32_e32 v43, v61, v63
	v_fmamk_f32 v36, v42, 0x3f737871, v34
	v_sub_f32_e32 v44, v60, v62
	v_sub_f32_e32 v45, v56, v53
	v_fmac_f32_e32 v39, 0xbf167918, v38
	v_fmac_f32_e32 v4, 0x3f167918, v38
	v_add_f32_e32 v38, v40, v53
	v_fmac_f32_e32 v36, 0x3f167918, v43
	v_add_f32_e32 v44, v44, v45
	v_add_f32_e32 v30, v30, v66
	ds_write2_b64 v205, v[16:17], v[12:13] offset1:65
	ds_write2_b64 v205, v[14:15], v[8:9] offset0:130 offset1:195
	v_add_f32_e32 v38, v38, v56
	v_add_nc_u32_e32 v8, 0x1000, v215
	v_fmac_f32_e32 v36, 0x3e9e377a, v44
	ds_write2_b64 v127, v[2:3], v[29:30] offset0:4 offset1:69
	ds_write2_b64 v127, v[27:28], v[31:32] offset0:134 offset1:199
	;; [unrolled: 1-line block ×4, first 2 shown]
	buffer_load_dword v9, off, s[16:19], 0 offset:40 ; 4-byte Folded Reload
	v_add_f32_e32 v40, v60, v56
	v_fmac_f32_e32 v34, 0xbf737871, v42
	v_fmac_f32_e32 v39, 0x3e9e377a, v41
	;; [unrolled: 1-line block ×3, first 2 shown]
	v_sub_f32_e32 v41, v62, v60
	v_fma_f32 v5, -0.5, v40, v5
	v_sub_f32_e32 v45, v53, v56
	v_add_f32_e32 v46, v58, v55
	v_fmac_f32_e32 v34, 0xbf167918, v43
	v_add_f32_e32 v47, v6, v59
	v_fmamk_f32 v40, v43, 0xbf737871, v5
	v_add_f32_e32 v45, v41, v45
	v_fma_f32 v41, -0.5, v46, v6
	v_sub_f32_e32 v46, v52, v49
	v_fmac_f32_e32 v34, 0x3e9e377a, v44
	v_fmac_f32_e32 v5, 0x3f737871, v43
	v_add_f32_e32 v44, v47, v58
	v_add_f32_e32 v51, v59, v112
	v_fmac_f32_e32 v40, 0x3f167918, v42
	v_fmamk_f32 v43, v46, 0xbf737871, v41
	v_sub_f32_e32 v48, v54, v113
	v_sub_f32_e32 v47, v59, v58
	;; [unrolled: 1-line block ×3, first 2 shown]
	v_fmac_f32_e32 v5, 0xbf167918, v42
	v_add_f32_e32 v42, v44, v55
	v_fma_f32 v6, -0.5, v51, v6
	v_fmac_f32_e32 v41, 0x3f737871, v46
	v_add_f32_e32 v51, v7, v52
	v_fmac_f32_e32 v40, 0x3e9e377a, v45
	v_fmac_f32_e32 v43, 0xbf167918, v48
	v_add_f32_e32 v44, v47, v50
	v_fmac_f32_e32 v5, 0x3e9e377a, v45
	v_add_f32_e32 v45, v42, v112
	v_fmamk_f32 v47, v48, 0x3f737871, v6
	v_sub_f32_e32 v42, v58, v59
	v_sub_f32_e32 v50, v55, v112
	v_fmac_f32_e32 v41, 0x3f167918, v48
	v_add_f32_e32 v53, v54, v113
	v_fmac_f32_e32 v6, 0xbf737871, v48
	v_add_f32_e32 v48, v51, v54
	;; [unrolled: 2-line block ×3, first 2 shown]
	v_fma_f32 v42, -0.5, v53, v7
	v_sub_f32_e32 v51, v59, v112
	v_fmac_f32_e32 v6, 0x3f167918, v46
	v_add_f32_e32 v46, v48, v113
	v_add_f32_e32 v48, v52, v49
	v_fmac_f32_e32 v43, 0x3e9e377a, v44
	v_fmac_f32_e32 v41, 0x3e9e377a, v44
	v_fmamk_f32 v44, v51, 0x3f737871, v42
	v_sub_f32_e32 v53, v58, v55
	v_sub_f32_e32 v55, v52, v54
	;; [unrolled: 1-line block ×3, first 2 shown]
	v_fmac_f32_e32 v7, -0.5, v48
	v_add_f32_e32 v46, v46, v49
	v_fmac_f32_e32 v42, 0xbf737871, v51
	v_sub_f32_e32 v52, v54, v52
	v_sub_f32_e32 v49, v113, v49
	v_add_f32_e32 v54, v20, v23
	v_fmac_f32_e32 v47, 0x3e9e377a, v50
	v_fmac_f32_e32 v6, 0x3e9e377a, v50
	;; [unrolled: 1-line block ×3, first 2 shown]
	v_add_f32_e32 v50, v55, v56
	v_fmamk_f32 v48, v53, 0xbf737871, v7
	v_fmac_f32_e32 v42, 0xbf167918, v53
	v_add_f32_e32 v52, v52, v49
	v_fmac_f32_e32 v7, 0x3f737871, v53
	v_add_f32_e32 v53, v0, v21
	v_fma_f32 v49, -0.5, v54, v0
	v_sub_f32_e32 v54, v18, v24
	v_fmac_f32_e32 v44, 0x3e9e377a, v50
	v_fmac_f32_e32 v48, 0x3f167918, v51
	;; [unrolled: 1-line block ×4, first 2 shown]
	v_add_f32_e32 v50, v53, v20
	v_fmamk_f32 v51, v54, 0xbf737871, v49
	v_sub_f32_e32 v56, v19, v22
	v_sub_f32_e32 v53, v21, v20
	;; [unrolled: 1-line block ×3, first 2 shown]
	v_fmac_f32_e32 v49, 0x3f737871, v54
	v_add_f32_e32 v57, v21, v114
	v_fmac_f32_e32 v51, 0xbf167918, v56
	v_add_f32_e32 v50, v50, v23
	v_add_f32_e32 v55, v53, v55
	v_fmac_f32_e32 v49, 0x3f167918, v56
	v_fma_f32 v0, -0.5, v57, v0
	v_fmac_f32_e32 v48, 0x3e9e377a, v52
	v_fmac_f32_e32 v7, 0x3e9e377a, v52
	;; [unrolled: 1-line block ×4, first 2 shown]
	v_fmamk_f32 v55, v56, 0x3f737871, v0
	v_fmac_f32_e32 v0, 0xbf737871, v56
	v_add_f32_e32 v56, v1, v18
	v_add_f32_e32 v53, v50, v114
	;; [unrolled: 1-line block ×3, first 2 shown]
	v_sub_f32_e32 v52, v20, v21
	v_sub_f32_e32 v57, v23, v114
	v_fmac_f32_e32 v55, 0xbf167918, v54
	v_fmac_f32_e32 v0, 0x3f167918, v54
	v_add_f32_e32 v54, v56, v19
	v_add_f32_e32 v56, v18, v24
	v_fma_f32 v50, -0.5, v50, v1
	v_sub_f32_e32 v21, v21, v114
	v_add_f32_e32 v57, v52, v57
	v_sub_f32_e32 v20, v20, v23
	v_fmac_f32_e32 v1, -0.5, v56
	v_add_f32_e32 v23, v54, v22
	v_fmamk_f32 v52, v21, 0x3f737871, v50
	v_fmac_f32_e32 v55, 0x3e9e377a, v57
	v_fmac_f32_e32 v0, 0x3e9e377a, v57
	v_sub_f32_e32 v54, v18, v19
	v_sub_f32_e32 v57, v24, v22
	v_fmamk_f32 v56, v20, 0xbf737871, v1
	v_sub_f32_e32 v18, v19, v18
	v_sub_f32_e32 v19, v22, v24
	v_fmac_f32_e32 v1, 0x3f737871, v20
	v_fmac_f32_e32 v50, 0xbf737871, v21
	;; [unrolled: 1-line block ×3, first 2 shown]
	v_add_f32_e32 v22, v54, v57
	v_add_f32_e32 v18, v18, v19
	v_fmac_f32_e32 v1, 0xbf167918, v21
	v_add_nc_u32_e32 v2, 0x1800, v215
	v_fmac_f32_e32 v50, 0xbf167918, v20
	v_fmac_f32_e32 v56, 0x3f167918, v21
	v_add_f32_e32 v54, v23, v24
	v_fmac_f32_e32 v52, 0x3e9e377a, v22
	v_fmac_f32_e32 v1, 0x3e9e377a, v18
	ds_write2_b64 v2, v[39:40], v[4:5] offset0:12 offset1:77
	v_add_nc_u32_e32 v2, 0x2800, v217
	v_fmac_f32_e32 v50, 0x3e9e377a, v22
	v_fmac_f32_e32 v56, 0x3e9e377a, v18
	s_waitcnt vmcnt(0)
	v_add_nc_u32_e32 v3, 0x1c00, v9
	v_add_nc_u32_e32 v8, 0x2000, v9
	ds_write_b64 v215, v[33:34] offset:7280
	ds_write2_b64 v3, v[45:46], v[43:44] offset0:79 offset1:144
	ds_write2_b64 v8, v[47:48], v[6:7] offset0:81 offset1:146
	ds_write_b64 v9, v[41:42] offset:9880
	ds_write2_b64 v2, v[53:54], v[51:52] offset0:20 offset1:85
	ds_write2_b64 v2, v[55:56], v[0:1] offset0:150 offset1:215
	ds_write_b64 v217, v[49:50] offset:12480
	s_waitcnt lgkmcnt(0)
	s_barrier
	buffer_gl0_inv
	ds_read2_b64 v[0:3], v127 offset0:4 offset1:69
	ds_read2_b64 v[12:15], v124 offset0:138 offset1:203
	;; [unrolled: 1-line block ×3, first 2 shown]
	ds_read2_b64 v[8:11], v205 offset1:65
	ds_read2_b64 v[20:23], v125 offset0:20 offset1:85
	ds_read2_b64 v[24:27], v127 offset0:134 offset1:199
	;; [unrolled: 1-line block ×8, first 2 shown]
	ds_read_b64 v[48:49], v205 offset:12480
	s_waitcnt lgkmcnt(12)
	v_mul_f32_e32 v50, v81, v3
	s_waitcnt lgkmcnt(11)
	v_mul_f32_e32 v51, v83, v13
	v_mul_f32_e32 v52, v83, v12
	s_waitcnt lgkmcnt(10)
	v_mul_f32_e32 v53, v77, v19
	v_mul_f32_e32 v54, v77, v18
	v_fmac_f32_e32 v50, v80, v2
	v_mul_f32_e32 v2, v81, v2
	v_fmac_f32_e32 v51, v82, v12
	s_waitcnt lgkmcnt(8)
	v_mul_f32_e32 v12, v107, v22
	v_fma_f32 v52, v82, v13, -v52
	v_fmac_f32_e32 v53, v76, v18
	v_fma_f32 v55, v80, v3, -v2
	v_mul_f32_e32 v2, v79, v20
	s_waitcnt lgkmcnt(7)
	v_mul_f32_e32 v3, v109, v24
	v_fma_f32 v54, v76, v19, -v54
	v_mul_f32_e32 v13, v79, v21
	v_fma_f32 v64, v106, v23, -v12
	v_fma_f32 v58, v78, v21, -v2
	;; [unrolled: 1-line block ×3, first 2 shown]
	v_mul_f32_e32 v2, v111, v14
	s_waitcnt lgkmcnt(6)
	v_mul_f32_e32 v3, v105, v28
	s_waitcnt lgkmcnt(2)
	v_mul_f32_e32 v12, v101, v40
	v_fmac_f32_e32 v13, v78, v20
	v_mul_f32_e32 v67, v85, v31
	v_fma_f32 v62, v110, v15, -v2
	v_fma_f32 v63, v104, v29, -v3
	v_mul_f32_e32 v2, v97, v26
	v_mul_f32_e32 v3, v99, v32
	v_fma_f32 v78, v100, v41, -v12
	v_mul_f32_e32 v12, v95, v16
	v_mul_f32_e32 v56, v109, v25
	v_fma_f32 v68, v96, v27, -v2
	v_fma_f32 v69, v98, v33, -v3
	v_mul_f32_e32 v2, v85, v30
	v_mul_f32_e32 v3, v87, v36
	;; [unrolled: 1-line block ×3, first 2 shown]
	v_fmac_f32_e32 v67, v84, v30
	v_fma_f32 v19, v94, v17, -v12
	v_fma_f32 v76, v84, v31, -v2
	;; [unrolled: 1-line block ×3, first 2 shown]
	v_mul_f32_e32 v2, v103, v34
	s_waitcnt lgkmcnt(1)
	v_mul_f32_e32 v3, v89, v44
	v_add_f32_e32 v12, v8, v50
	v_mul_f32_e32 v57, v111, v15
	v_fmac_f32_e32 v56, v108, v24
	v_fma_f32 v82, v102, v35, -v2
	v_fma_f32 v83, v88, v45, -v3
	v_mul_f32_e32 v2, v91, v38
	v_mul_f32_e32 v3, v93, v42
	v_fmac_f32_e32 v61, v106, v22
	v_mul_f32_e32 v20, v95, v17
	v_sub_f32_e32 v15, v55, v58
	v_fma_f32 v84, v90, v39, -v2
	v_fma_f32 v18, v92, v43, -v3
	v_add_f32_e32 v2, v51, v53
	v_mul_f32_e32 v3, v73, v46
	v_add_f32_e32 v24, v50, v13
	v_fmac_f32_e32 v57, v110, v14
	v_mul_f32_e32 v60, v105, v29
	v_fma_f32 v2, -0.5, v2, v8
	v_fma_f32 v22, v72, v47, -v3
	v_add_f32_e32 v3, v12, v51
	v_mul_f32_e32 v65, v97, v27
	v_fmac_f32_e32 v20, v94, v16
	v_fmamk_f32 v12, v15, 0xbf737871, v2
	v_sub_f32_e32 v17, v52, v54
	v_sub_f32_e32 v14, v50, v51
	;; [unrolled: 1-line block ×3, first 2 shown]
	s_waitcnt lgkmcnt(0)
	v_mul_f32_e32 v25, v75, v48
	v_add_f32_e32 v3, v3, v53
	v_fma_f32 v8, -0.5, v24, v8
	v_fmac_f32_e32 v2, 0x3f737871, v15
	v_add_f32_e32 v27, v9, v55
	v_fmac_f32_e32 v60, v104, v28
	v_fmac_f32_e32 v65, v96, v26
	;; [unrolled: 1-line block ×3, first 2 shown]
	v_add_f32_e32 v26, v14, v16
	v_fma_f32 v24, v74, v49, -v25
	v_add_f32_e32 v14, v3, v13
	v_fmamk_f32 v16, v17, 0x3f737871, v8
	v_sub_f32_e32 v3, v51, v50
	v_sub_f32_e32 v25, v53, v13
	v_fmac_f32_e32 v2, 0x3f167918, v17
	v_add_f32_e32 v28, v52, v54
	v_fmac_f32_e32 v8, 0xbf737871, v17
	v_add_f32_e32 v17, v27, v52
	;; [unrolled: 2-line block ×3, first 2 shown]
	v_fma_f32 v3, -0.5, v28, v9
	v_sub_f32_e32 v28, v50, v13
	v_fmac_f32_e32 v8, 0x3f167918, v15
	v_add_f32_e32 v15, v17, v54
	v_add_f32_e32 v17, v55, v58
	v_fmac_f32_e32 v12, 0x3e9e377a, v26
	v_fmac_f32_e32 v2, 0x3e9e377a, v26
	v_fmamk_f32 v13, v28, 0x3f737871, v3
	v_sub_f32_e32 v26, v51, v53
	v_sub_f32_e32 v27, v55, v52
	;; [unrolled: 1-line block ×3, first 2 shown]
	v_fma_f32 v9, -0.5, v17, v9
	v_fmac_f32_e32 v3, 0xbf737871, v28
	v_add_f32_e32 v31, v10, v56
	v_mul_f32_e32 v79, v103, v35
	v_fmac_f32_e32 v16, 0x3e9e377a, v25
	v_fmac_f32_e32 v8, 0x3e9e377a, v25
	;; [unrolled: 1-line block ×3, first 2 shown]
	v_add_f32_e32 v27, v27, v29
	v_fmamk_f32 v17, v26, 0xbf737871, v9
	v_sub_f32_e32 v25, v52, v55
	v_sub_f32_e32 v29, v54, v58
	v_add_f32_e32 v30, v57, v60
	v_fmac_f32_e32 v3, 0xbf167918, v26
	v_fmac_f32_e32 v9, 0x3f737871, v26
	v_add_f32_e32 v26, v31, v57
	v_mul_f32_e32 v66, v99, v33
	v_fmac_f32_e32 v79, v102, v34
	v_fmac_f32_e32 v17, 0x3f167918, v28
	v_add_f32_e32 v29, v25, v29
	v_fma_f32 v25, -0.5, v30, v10
	v_sub_f32_e32 v30, v59, v64
	v_sub_f32_e32 v31, v56, v57
	;; [unrolled: 1-line block ×3, first 2 shown]
	v_add_f32_e32 v34, v56, v61
	v_fmac_f32_e32 v9, 0xbf167918, v28
	v_add_f32_e32 v26, v26, v60
	v_fmac_f32_e32 v66, v98, v32
	v_fmac_f32_e32 v13, 0x3e9e377a, v27
	;; [unrolled: 1-line block ×4, first 2 shown]
	v_fmamk_f32 v27, v30, 0xbf737871, v25
	v_sub_f32_e32 v32, v62, v63
	v_add_f32_e32 v28, v31, v33
	v_fma_f32 v10, -0.5, v34, v10
	v_fmac_f32_e32 v9, 0x3e9e377a, v29
	v_add_f32_e32 v29, v26, v61
	v_fmac_f32_e32 v25, 0x3f737871, v30
	v_sub_f32_e32 v26, v57, v56
	v_sub_f32_e32 v33, v60, v61
	v_add_f32_e32 v34, v11, v59
	v_add_f32_e32 v35, v62, v63
	v_mul_f32_e32 v70, v87, v37
	v_fmac_f32_e32 v27, 0xbf167918, v32
	v_fmamk_f32 v31, v32, 0x3f737871, v10
	v_fmac_f32_e32 v25, 0x3f167918, v32
	v_add_f32_e32 v33, v26, v33
	v_fmac_f32_e32 v10, 0xbf737871, v32
	v_add_f32_e32 v32, v34, v62
	v_fma_f32 v26, -0.5, v35, v11
	v_sub_f32_e32 v34, v56, v61
	v_fmac_f32_e32 v70, v86, v36
	v_fmac_f32_e32 v27, 0x3e9e377a, v28
	;; [unrolled: 1-line block ×5, first 2 shown]
	v_add_f32_e32 v30, v32, v63
	v_fmamk_f32 v28, v34, 0x3f737871, v26
	v_add_f32_e32 v32, v59, v64
	v_sub_f32_e32 v35, v57, v60
	v_sub_f32_e32 v36, v59, v62
	;; [unrolled: 1-line block ×3, first 2 shown]
	v_fmac_f32_e32 v26, 0xbf737871, v34
	v_mul_f32_e32 v81, v91, v39
	v_fmac_f32_e32 v11, -0.5, v32
	v_fmac_f32_e32 v28, 0x3f167918, v35
	v_add_f32_e32 v36, v36, v37
	v_fmac_f32_e32 v26, 0xbf167918, v35
	v_add_f32_e32 v39, v4, v65
	v_fmac_f32_e32 v81, v90, v38
	v_mul_f32_e32 v21, v93, v43
	v_fmac_f32_e32 v31, 0x3e9e377a, v33
	v_fmac_f32_e32 v10, 0x3e9e377a, v33
	v_fmamk_f32 v32, v35, 0xbf737871, v11
	v_sub_f32_e32 v33, v62, v59
	v_sub_f32_e32 v37, v63, v64
	v_fmac_f32_e32 v28, 0x3e9e377a, v36
	v_add_f32_e32 v38, v66, v67
	v_fmac_f32_e32 v26, 0x3e9e377a, v36
	v_fmac_f32_e32 v11, 0x3f737871, v35
	v_add_f32_e32 v36, v39, v66
	v_mul_f32_e32 v71, v101, v41
	v_fmac_f32_e32 v21, v92, v42
	v_fmac_f32_e32 v32, 0x3f167918, v34
	v_add_f32_e32 v37, v33, v37
	v_fma_f32 v33, -0.5, v38, v4
	v_sub_f32_e32 v38, v68, v77
	v_sub_f32_e32 v39, v65, v66
	;; [unrolled: 1-line block ×3, first 2 shown]
	v_add_f32_e32 v42, v65, v70
	v_fmac_f32_e32 v11, 0xbf167918, v34
	v_add_f32_e32 v34, v36, v67
	v_fmac_f32_e32 v71, v100, v40
	v_fmac_f32_e32 v32, 0x3e9e377a, v37
	v_fmamk_f32 v35, v38, 0xbf737871, v33
	v_sub_f32_e32 v40, v69, v76
	v_add_f32_e32 v36, v39, v41
	v_fma_f32 v4, -0.5, v42, v4
	v_fmac_f32_e32 v11, 0x3e9e377a, v37
	v_add_f32_e32 v37, v34, v70
	v_fmac_f32_e32 v33, 0x3f737871, v38
	v_sub_f32_e32 v34, v66, v65
	v_sub_f32_e32 v41, v67, v70
	v_add_f32_e32 v42, v5, v68
	v_add_f32_e32 v43, v69, v76
	v_mul_f32_e32 v80, v89, v45
	v_fmac_f32_e32 v35, 0xbf167918, v40
	v_fmamk_f32 v39, v40, 0x3f737871, v4
	v_fmac_f32_e32 v33, 0x3f167918, v40
	v_add_f32_e32 v41, v34, v41
	v_fmac_f32_e32 v4, 0xbf737871, v40
	v_add_f32_e32 v40, v42, v69
	v_fma_f32 v34, -0.5, v43, v5
	v_sub_f32_e32 v42, v65, v70
	v_fmac_f32_e32 v80, v88, v44
	v_mul_f32_e32 v23, v73, v47
	v_fmac_f32_e32 v35, 0x3e9e377a, v36
	v_fmac_f32_e32 v39, 0xbf167918, v38
	;; [unrolled: 1-line block ×4, first 2 shown]
	v_add_f32_e32 v38, v40, v76
	v_fmamk_f32 v36, v42, 0x3f737871, v34
	v_add_f32_e32 v40, v68, v77
	v_sub_f32_e32 v43, v66, v67
	v_sub_f32_e32 v44, v68, v69
	;; [unrolled: 1-line block ×3, first 2 shown]
	v_fmac_f32_e32 v34, 0xbf737871, v42
	v_fmac_f32_e32 v23, v72, v46
	;; [unrolled: 1-line block ×4, first 2 shown]
	v_fma_f32 v5, -0.5, v40, v5
	v_fmac_f32_e32 v36, 0x3f167918, v43
	v_add_f32_e32 v44, v44, v45
	v_sub_f32_e32 v41, v69, v68
	v_sub_f32_e32 v45, v76, v77
	v_add_f32_e32 v46, v79, v80
	v_fmac_f32_e32 v34, 0xbf167918, v43
	v_add_f32_e32 v47, v6, v71
	v_mul_f32_e32 v73, v75, v49
	v_fmamk_f32 v40, v43, 0xbf737871, v5
	v_fmac_f32_e32 v36, 0x3e9e377a, v44
	v_add_f32_e32 v45, v41, v45
	v_fma_f32 v41, -0.5, v46, v6
	v_sub_f32_e32 v46, v78, v84
	v_fmac_f32_e32 v34, 0x3e9e377a, v44
	v_fmac_f32_e32 v5, 0x3f737871, v43
	v_add_f32_e32 v44, v47, v79
	v_add_f32_e32 v50, v71, v81
	v_fmac_f32_e32 v73, v74, v48
	v_fmac_f32_e32 v40, 0x3f167918, v42
	v_fmamk_f32 v43, v46, 0xbf737871, v41
	v_sub_f32_e32 v48, v82, v83
	v_sub_f32_e32 v47, v71, v79
	;; [unrolled: 1-line block ×3, first 2 shown]
	v_fmac_f32_e32 v5, 0xbf167918, v42
	v_add_f32_e32 v42, v44, v80
	v_fma_f32 v6, -0.5, v50, v6
	v_fmac_f32_e32 v41, 0x3f737871, v46
	v_add_f32_e32 v50, v7, v78
	v_fmac_f32_e32 v40, 0x3e9e377a, v45
	v_fmac_f32_e32 v43, 0xbf167918, v48
	v_add_f32_e32 v44, v47, v49
	v_fmac_f32_e32 v5, 0x3e9e377a, v45
	v_add_f32_e32 v45, v42, v81
	v_fmamk_f32 v47, v48, 0x3f737871, v6
	v_sub_f32_e32 v42, v79, v71
	v_sub_f32_e32 v49, v80, v81
	v_fmac_f32_e32 v41, 0x3f167918, v48
	v_add_f32_e32 v51, v82, v83
	v_fmac_f32_e32 v6, 0xbf737871, v48
	v_add_f32_e32 v48, v50, v82
	;; [unrolled: 2-line block ×3, first 2 shown]
	v_fma_f32 v42, -0.5, v51, v7
	v_sub_f32_e32 v50, v71, v81
	v_fmac_f32_e32 v6, 0x3f167918, v46
	v_add_f32_e32 v46, v48, v83
	v_add_f32_e32 v48, v78, v84
	v_sub_f32_e32 v52, v78, v82
	v_sub_f32_e32 v53, v84, v83
	v_fmac_f32_e32 v43, 0x3e9e377a, v44
	v_fmac_f32_e32 v41, 0x3e9e377a, v44
	;; [unrolled: 1-line block ×3, first 2 shown]
	v_fmamk_f32 v44, v50, 0x3f737871, v42
	v_sub_f32_e32 v51, v79, v80
	v_fmac_f32_e32 v6, 0x3e9e377a, v49
	v_fmac_f32_e32 v7, -0.5, v48
	v_add_f32_e32 v52, v52, v53
	v_fmac_f32_e32 v42, 0xbf737871, v50
	v_sub_f32_e32 v49, v82, v78
	v_sub_f32_e32 v53, v83, v84
	v_add_f32_e32 v54, v20, v23
	v_fmac_f32_e32 v44, 0x3f167918, v51
	v_fmamk_f32 v48, v51, 0xbf737871, v7
	v_fmac_f32_e32 v42, 0xbf167918, v51
	v_add_f32_e32 v53, v49, v53
	v_fmac_f32_e32 v7, 0x3f737871, v51
	v_add_f32_e32 v51, v0, v21
	v_fma_f32 v49, -0.5, v54, v0
	v_sub_f32_e32 v54, v18, v24
	v_fmac_f32_e32 v44, 0x3e9e377a, v52
	v_fmac_f32_e32 v48, 0x3f167918, v50
	;; [unrolled: 1-line block ×4, first 2 shown]
	v_add_f32_e32 v50, v51, v20
	v_fmamk_f32 v51, v54, 0xbf737871, v49
	v_sub_f32_e32 v52, v19, v22
	v_sub_f32_e32 v55, v21, v20
	;; [unrolled: 1-line block ×3, first 2 shown]
	v_fmac_f32_e32 v49, 0x3f737871, v54
	v_add_f32_e32 v57, v21, v73
	v_add_f32_e32 v50, v50, v23
	v_fmac_f32_e32 v51, 0xbf167918, v52
	v_add_f32_e32 v55, v55, v56
	v_fmac_f32_e32 v49, 0x3f167918, v52
	v_fma_f32 v0, -0.5, v57, v0
	v_sub_f32_e32 v56, v20, v21
	v_sub_f32_e32 v57, v23, v73
	v_fmac_f32_e32 v48, 0x3e9e377a, v53
	v_fmac_f32_e32 v7, 0x3e9e377a, v53
	v_add_f32_e32 v53, v50, v73
	v_fmac_f32_e32 v51, 0x3e9e377a, v55
	v_fmac_f32_e32 v49, 0x3e9e377a, v55
	v_fmamk_f32 v55, v52, 0x3f737871, v0
	v_add_f32_e32 v50, v19, v22
	v_fmac_f32_e32 v0, 0xbf737871, v52
	v_add_f32_e32 v52, v1, v18
	v_add_f32_e32 v56, v56, v57
	;; [unrolled: 1-line block ×3, first 2 shown]
	v_fma_f32 v50, -0.5, v50, v1
	v_fmac_f32_e32 v55, 0xbf167918, v54
	v_fmac_f32_e32 v0, 0x3f167918, v54
	v_add_f32_e32 v54, v52, v19
	v_sub_f32_e32 v20, v20, v23
	v_fmac_f32_e32 v1, -0.5, v57
	v_sub_f32_e32 v21, v21, v73
	v_fmac_f32_e32 v55, 0x3e9e377a, v56
	v_fmac_f32_e32 v0, 0x3e9e377a, v56
	v_add_f32_e32 v23, v54, v22
	v_sub_f32_e32 v54, v18, v19
	v_fmamk_f32 v56, v20, 0xbf737871, v1
	v_sub_f32_e32 v18, v19, v18
	v_sub_f32_e32 v19, v22, v24
	v_fmac_f32_e32 v1, 0x3f737871, v20
	v_fmamk_f32 v52, v21, 0x3f737871, v50
	v_sub_f32_e32 v57, v24, v22
	v_fmac_f32_e32 v50, 0xbf737871, v21
	v_fmac_f32_e32 v56, 0x3f167918, v21
	v_add_f32_e32 v18, v18, v19
	v_fmac_f32_e32 v1, 0xbf167918, v21
	v_add_f32_e32 v15, v15, v58
	;; [unrolled: 2-line block ×3, first 2 shown]
	v_fmac_f32_e32 v50, 0xbf167918, v20
	v_fmac_f32_e32 v56, 0x3e9e377a, v18
	;; [unrolled: 1-line block ×3, first 2 shown]
	v_add_nc_u32_e32 v18, 0x800, v207
	v_add_nc_u32_e32 v19, 0x1000, v207
	;; [unrolled: 1-line block ×4, first 2 shown]
	v_add_f32_e32 v30, v30, v64
	v_add_f32_e32 v38, v38, v77
	;; [unrolled: 1-line block ×4, first 2 shown]
	v_fmac_f32_e32 v52, 0x3e9e377a, v22
	v_fmac_f32_e32 v50, 0x3e9e377a, v22
	ds_write_b64 v205, v[14:15]
	ds_write2_b64 v18, v[12:13], v[27:28] offset0:69 offset1:134
	ds_write2_b64 v19, v[16:17], v[31:32] offset0:138 offset1:203
	;; [unrolled: 1-line block ×5, first 2 shown]
	ds_write_b64 v220, v[35:36] offset:2600
	ds_write_b64 v220, v[39:40] offset:5200
	;; [unrolled: 1-line block ×14, first 2 shown]
	s_waitcnt lgkmcnt(0)
	s_barrier
	buffer_gl0_inv
	ds_read2_b64 v[1:4], v205 offset1:125
	v_mad_u64_u32 v[19:20], null, s8, v206, 0
	s_waitcnt lgkmcnt(0)
	v_mul_f32_e32 v5, v192, v1
	v_mul_f32_e32 v0, v192, v2
	;; [unrolled: 1-line block ×4, first 2 shown]
	v_fma_f32 v5, v191, v2, -v5
	v_add_nc_u32_e32 v2, 0x400, v205
	v_fmac_f32_e32 v0, v191, v1
	v_fmac_f32_e32 v13, v187, v3
	v_fma_f32 v4, v187, v4, -v14
	v_cvt_f64_f32_e32 v[9:10], v5
	ds_read2_b64 v[5:8], v2 offset0:122 offset1:247
	s_clause 0x1
	buffer_load_dword v11, off, s[16:19], 0 offset:8
	buffer_load_dword v12, off, s[16:19], 0 offset:12
	v_cvt_f64_f32_e32 v[0:1], v0
	v_cvt_f64_f32_e32 v[13:14], v13
	;; [unrolled: 1-line block ×3, first 2 shown]
	s_waitcnt lgkmcnt(0)
	v_mul_f32_e32 v4, v186, v5
	v_mul_f64 v[17:18], v[9:10], s[4:5]
	v_mul_f64 v[0:1], v[0:1], s[4:5]
	;; [unrolled: 1-line block ×4, first 2 shown]
	v_cvt_f32_f64_e32 v0, v[0:1]
	v_cvt_f32_f64_e32 v1, v[17:18]
	;; [unrolled: 1-line block ×4, first 2 shown]
	s_waitcnt vmcnt(1)
	v_mov_b32_e32 v21, v11
	s_waitcnt vmcnt(0)
	v_mad_u64_u32 v[11:12], null, s10, v21, 0
	v_mov_b32_e32 v3, v12
	v_mul_f32_e32 v12, v186, v6
	v_fma_f32 v6, v185, v6, -v4
	v_mad_u64_u32 v[3:4], null, s11, v21, v[3:4]
	v_fmac_f32_e32 v12, v185, v5
	v_cvt_f64_f32_e32 v[21:22], v6
	v_mov_b32_e32 v6, v20
	v_cvt_f64_f32_e32 v[4:5], v12
	v_mov_b32_e32 v12, v3
	v_add_nc_u32_e32 v3, 0xc00, v205
	v_mad_u64_u32 v[23:24], null, s9, v206, v[6:7]
	v_lshlrev_b64 v[24:25], 3, v[11:12]
	ds_read2_b64 v[9:12], v3 offset0:116 offset1:241
	v_mov_b32_e32 v20, v23
	v_add_co_u32 v23, s0, s2, v24
	v_add_co_ci_u32_e64 v24, s0, s3, v25, s0
	v_lshlrev_b64 v[17:18], 3, v[19:20]
	v_mul_f64 v[19:20], v[21:22], s[4:5]
	v_mul_f32_e32 v21, v198, v7
	v_mul_f64 v[5:6], v[4:5], s[4:5]
	v_mul_f32_e32 v4, v198, v8
	v_add_co_u32 v17, s0, v23, v17
	v_add_co_ci_u32_e64 v18, s0, v24, v18, s0
	v_fmac_f32_e32 v4, v197, v7
	v_fma_f32 v7, v197, v8, -v21
	s_waitcnt lgkmcnt(0)
	v_mul_f32_e32 v8, v196, v10
	s_mul_i32 s0, s9, 0x7d
	v_cvt_f64_f32_e32 v[15:16], v4
	v_mul_f32_e32 v4, v196, v9
	v_cvt_f64_f32_e32 v[21:22], v7
	v_fmac_f32_e32 v8, v195, v9
	s_add_i32 s1, s1, s0
	s_mul_i32 s0, s8, 0x7d
	v_fma_f32 v7, v195, v10, -v4
	v_add_nc_u32_e32 v4, 0x1400, v205
	v_cvt_f64_f32_e32 v[9:10], v8
	s_lshl_b64 s[2:3], s[0:1], 3
	v_cvt_f32_f64_e32 v26, v[19:20]
	v_cvt_f64_f32_e32 v[23:24], v7
	v_cvt_f32_f64_e32 v25, v[5:6]
	ds_read2_b64 v[5:8], v4 offset0:110 offset1:235
	v_add_co_u32 v19, s0, v17, s2
	v_add_co_ci_u32_e64 v20, s0, s3, v18, s0
	global_store_dwordx2 v[17:18], v[0:1], off
	global_store_dwordx2 v[19:20], v[13:14], off
	v_add_co_u32 v13, s0, v19, s2
	v_mul_f64 v[15:16], v[15:16], s[4:5]
	v_mul_f64 v[0:1], v[21:22], s[4:5]
	v_mul_f32_e32 v21, v194, v12
	v_add_co_ci_u32_e64 v14, s0, s3, v20, s0
	v_mul_f64 v[17:18], v[9:10], s[4:5]
	v_mul_f32_e32 v9, v194, v11
	v_fmac_f32_e32 v21, v193, v11
	s_waitcnt lgkmcnt(0)
	v_mul_f32_e32 v10, v190, v6
	v_mul_f32_e32 v11, v190, v5
	;; [unrolled: 1-line block ×3, first 2 shown]
	v_fma_f32 v9, v193, v12, -v9
	v_mul_f64 v[19:20], v[23:24], s[4:5]
	v_fmac_f32_e32 v10, v189, v5
	v_fma_f32 v5, v189, v6, -v11
	v_add_nc_u32_e32 v6, 0x1c00, v205
	global_store_dwordx2 v[13:14], v[25:26], off
	v_cvt_f64_f32_e32 v[23:24], v9
	v_cvt_f64_f32_e32 v[27:28], v10
	;; [unrolled: 1-line block ×3, first 2 shown]
	v_add_nc_u32_e32 v5, 0x2400, v205
	v_cvt_f32_f64_e32 v26, v[0:1]
	ds_read2_b64 v[9:12], v6 offset0:104 offset1:229
	v_add_co_u32 v0, s0, v13, s2
	v_cvt_f32_f64_e32 v25, v[15:16]
	v_add_co_ci_u32_e64 v1, s0, s3, v14, s0
	ds_read2_b64 v[13:16], v5 offset0:98 offset1:223
	v_cvt_f64_f32_e32 v[21:22], v21
	v_mul_f32_e32 v32, v184, v7
	v_fmac_f32_e32 v31, v183, v7
	v_cvt_f32_f64_e32 v17, v[17:18]
	v_cvt_f32_f64_e32 v18, v[19:20]
	v_fma_f32 v33, v183, v8, -v32
	v_add_co_u32 v19, s0, v0, s2
	v_add_co_ci_u32_e64 v20, s0, s3, v1, s0
	v_mul_f64 v[7:8], v[27:28], s[4:5]
	v_mul_f64 v[27:28], v[29:30], s[4:5]
	v_cvt_f64_f32_e32 v[29:30], v31
	ds_read_b64 v[31:32], v205 offset:12000
	s_waitcnt lgkmcnt(2)
	v_mul_f32_e32 v35, v177, v10
	v_mul_f32_e32 v36, v177, v9
	v_cvt_f64_f32_e32 v[33:34], v33
	v_mul_f32_e32 v37, v175, v12
	s_waitcnt lgkmcnt(1)
	v_mul_f32_e32 v39, v173, v14
	v_mul_f32_e32 v38, v175, v11
	v_fmac_f32_e32 v35, v176, v9
	v_mul_f64 v[21:22], v[21:22], s[4:5]
	v_fma_f32 v36, v176, v10, -v36
	v_fmac_f32_e32 v39, v172, v13
	v_mul_f32_e32 v13, v173, v13
	v_mul_f32_e32 v41, v180, v16
	;; [unrolled: 1-line block ×3, first 2 shown]
	v_fmac_f32_e32 v37, v174, v11
	v_fma_f32 v38, v174, v12, -v38
	v_cvt_f64_f32_e32 v[9:10], v35
	v_cvt_f64_f32_e32 v[11:12], v36
	v_fma_f32 v13, v172, v14, -v13
	v_fmac_f32_e32 v41, v179, v15
	s_waitcnt lgkmcnt(0)
	v_mul_f32_e32 v43, v182, v32
	v_mul_f32_e32 v44, v182, v31
	v_fma_f32 v42, v179, v16, -v42
	v_mul_f64 v[23:24], v[23:24], s[4:5]
	v_cvt_f64_f32_e32 v[35:36], v37
	v_fmac_f32_e32 v43, v181, v31
	v_fma_f32 v44, v181, v32, -v44
	v_cvt_f64_f32_e32 v[37:38], v38
	v_cvt_f64_f32_e32 v[39:40], v39
	;; [unrolled: 1-line block ×7, first 2 shown]
	global_store_dwordx2 v[0:1], v[25:26], off
	global_store_dwordx2 v[19:20], v[17:18], off
	v_cvt_f32_f64_e32 v0, v[21:22]
	v_mul_f64 v[17:18], v[29:30], s[4:5]
	v_mul_f64 v[21:22], v[33:34], s[4:5]
	;; [unrolled: 1-line block ×4, first 2 shown]
	v_cvt_f32_f64_e32 v7, v[7:8]
	v_cvt_f32_f64_e32 v8, v[27:28]
	v_add_co_u32 v19, s0, v19, s2
	v_add_co_ci_u32_e64 v20, s0, s3, v20, s0
	v_cvt_f32_f64_e32 v1, v[23:24]
	v_mul_f64 v[23:24], v[35:36], s[4:5]
	v_add_co_u32 v35, s0, v19, s2
	v_mul_f64 v[25:26], v[37:38], s[4:5]
	v_mul_f64 v[27:28], v[39:40], s[4:5]
	;; [unrolled: 1-line block ×7, first 2 shown]
	v_add_co_ci_u32_e64 v36, s0, s3, v20, s0
	v_cvt_f32_f64_e32 v17, v[17:18]
	v_cvt_f32_f64_e32 v18, v[21:22]
	v_add_co_u32 v21, s0, v35, s2
	v_add_co_ci_u32_e64 v22, s0, s3, v36, s0
	v_cvt_f32_f64_e32 v9, v[9:10]
	v_cvt_f32_f64_e32 v10, v[11:12]
	v_add_co_u32 v11, s0, v21, s2
	v_add_co_ci_u32_e64 v12, s0, s3, v22, s0
	v_cvt_f32_f64_e32 v23, v[23:24]
	v_cvt_f32_f64_e32 v24, v[25:26]
	;; [unrolled: 1-line block ×3, first 2 shown]
	v_add_co_u32 v27, s0, v11, s2
	v_cvt_f32_f64_e32 v26, v[13:14]
	v_add_co_ci_u32_e64 v28, s0, s3, v12, s0
	v_cvt_f32_f64_e32 v13, v[15:16]
	v_cvt_f32_f64_e32 v14, v[29:30]
	;; [unrolled: 1-line block ×4, first 2 shown]
	global_store_dwordx2 v[19:20], v[0:1], off
	v_add_co_u32 v19, s0, v27, s2
	v_add_co_ci_u32_e64 v20, s0, s3, v28, s0
	global_store_dwordx2 v[35:36], v[7:8], off
	v_add_co_u32 v7, s0, v19, s2
	v_add_co_ci_u32_e64 v8, s0, s3, v20, s0
	;; [unrolled: 3-line block ×3, first 2 shown]
	global_store_dwordx2 v[11:12], v[9:10], off
	global_store_dwordx2 v[27:28], v[23:24], off
	;; [unrolled: 1-line block ×5, first 2 shown]
	s_and_b32 exec_lo, exec_lo, vcc_lo
	s_cbranch_execz .LBB0_15
; %bb.14:
	global_load_dwordx2 v[7:8], v[168:169], off offset:520
	ds_read_b64 v[9:10], v207 offset:520
	v_mad_u64_u32 v[0:1], null, 0xffffd328, s8, v[0:1]
	s_mul_i32 s0, s9, 0xffffd328
	s_sub_i32 s0, s0, s8
	v_add_nc_u32_e32 v1, s0, v1
	s_waitcnt vmcnt(0) lgkmcnt(0)
	v_mul_f32_e32 v11, v10, v8
	v_mul_f32_e32 v8, v9, v8
	v_fmac_f32_e32 v11, v9, v7
	v_fma_f32 v9, v7, v10, -v8
	v_cvt_f64_f32_e32 v[7:8], v11
	v_cvt_f64_f32_e32 v[9:10], v9
	v_mul_f64 v[7:8], v[7:8], s[4:5]
	v_mul_f64 v[9:10], v[9:10], s[4:5]
	v_cvt_f32_f64_e32 v7, v[7:8]
	v_cvt_f32_f64_e32 v8, v[9:10]
	global_store_dwordx2 v[0:1], v[7:8], off
	global_load_dwordx2 v[11:12], v[168:169], off offset:1520
	ds_read2_b64 v[7:10], v2 offset0:62 offset1:187
	v_add_co_u32 v0, vcc_lo, v0, s2
	v_add_co_ci_u32_e32 v1, vcc_lo, s3, v1, vcc_lo
	s_waitcnt vmcnt(0) lgkmcnt(0)
	v_mul_f32_e32 v2, v8, v12
	v_mul_f32_e32 v12, v7, v12
	v_fmac_f32_e32 v2, v7, v11
	v_fma_f32 v11, v11, v8, -v12
	v_cvt_f64_f32_e32 v[7:8], v2
	v_cvt_f64_f32_e32 v[11:12], v11
	v_mul_f64 v[7:8], v[7:8], s[4:5]
	v_mul_f64 v[11:12], v[11:12], s[4:5]
	v_cvt_f32_f64_e32 v7, v[7:8]
	v_cvt_f32_f64_e32 v8, v[11:12]
	global_store_dwordx2 v[0:1], v[7:8], off
	s_clause 0x1
	buffer_load_dword v11, off, s[16:19], 0
	buffer_load_dword v12, off, s[16:19], 0 offset:4
	s_waitcnt vmcnt(0)
	global_load_dwordx2 v[7:8], v[11:12], off offset:472
	s_waitcnt vmcnt(0)
	v_mul_f32_e32 v2, v10, v8
	v_mul_f32_e32 v8, v9, v8
	v_fmac_f32_e32 v2, v9, v7
	v_fma_f32 v9, v7, v10, -v8
	v_cvt_f64_f32_e32 v[7:8], v2
	v_cvt_f64_f32_e32 v[9:10], v9
	v_mul_f64 v[7:8], v[7:8], s[4:5]
	v_mul_f64 v[9:10], v[9:10], s[4:5]
	v_cvt_f32_f64_e32 v7, v[7:8]
	v_cvt_f32_f64_e32 v8, v[9:10]
	v_add_co_u32 v9, vcc_lo, v0, s2
	v_add_co_ci_u32_e32 v10, vcc_lo, s3, v1, vcc_lo
	ds_read2_b64 v[0:3], v3 offset0:56 offset1:181
	global_store_dwordx2 v[9:10], v[7:8], off
	global_load_dwordx2 v[7:8], v[11:12], off offset:1472
	s_waitcnt vmcnt(0) lgkmcnt(0)
	v_mul_f32_e32 v11, v1, v8
	v_mul_f32_e32 v8, v0, v8
	v_fmac_f32_e32 v11, v0, v7
	v_fma_f32 v7, v7, v1, -v8
	v_cvt_f64_f32_e32 v[0:1], v11
	v_cvt_f64_f32_e32 v[7:8], v7
	v_mul_f64 v[0:1], v[0:1], s[4:5]
	v_mul_f64 v[7:8], v[7:8], s[4:5]
	v_cvt_f32_f64_e32 v0, v[0:1]
	v_cvt_f32_f64_e32 v1, v[7:8]
	v_add_co_u32 v7, vcc_lo, v9, s2
	v_add_co_ci_u32_e32 v8, vcc_lo, s3, v10, vcc_lo
	global_store_dwordx2 v[7:8], v[0:1], off
	global_load_dwordx2 v[0:1], v[170:171], off offset:424
	v_add_co_u32 v7, vcc_lo, v7, s2
	v_add_co_ci_u32_e32 v8, vcc_lo, s3, v8, vcc_lo
	s_waitcnt vmcnt(0)
	v_mul_f32_e32 v9, v3, v1
	v_mul_f32_e32 v1, v2, v1
	v_fmac_f32_e32 v9, v2, v0
	v_fma_f32 v2, v0, v3, -v1
	v_cvt_f64_f32_e32 v[0:1], v9
	v_cvt_f64_f32_e32 v[2:3], v2
	v_mul_f64 v[0:1], v[0:1], s[4:5]
	v_mul_f64 v[2:3], v[2:3], s[4:5]
	v_cvt_f32_f64_e32 v0, v[0:1]
	v_cvt_f32_f64_e32 v1, v[2:3]
	global_store_dwordx2 v[7:8], v[0:1], off
	global_load_dwordx2 v[9:10], v[170:171], off offset:1424
	ds_read2_b64 v[0:3], v4 offset0:50 offset1:175
	v_add_co_u32 v7, vcc_lo, v7, s2
	v_add_co_ci_u32_e32 v8, vcc_lo, s3, v8, vcc_lo
	s_waitcnt vmcnt(0) lgkmcnt(0)
	v_mul_f32_e32 v4, v1, v10
	v_mul_f32_e32 v10, v0, v10
	v_fmac_f32_e32 v4, v0, v9
	v_fma_f32 v9, v9, v1, -v10
	v_cvt_f64_f32_e32 v[0:1], v4
	v_cvt_f64_f32_e32 v[9:10], v9
	v_mul_f64 v[0:1], v[0:1], s[4:5]
	v_mul_f64 v[9:10], v[9:10], s[4:5]
	v_cvt_f32_f64_e32 v0, v[0:1]
	v_cvt_f32_f64_e32 v1, v[9:10]
	global_store_dwordx2 v[7:8], v[0:1], off
	global_load_dwordx2 v[0:1], v[166:167], off offset:376
	v_add_co_u32 v7, vcc_lo, v7, s2
	v_add_co_ci_u32_e32 v8, vcc_lo, s3, v8, vcc_lo
	s_waitcnt vmcnt(0)
	v_mul_f32_e32 v4, v3, v1
	v_mul_f32_e32 v1, v2, v1
	v_fmac_f32_e32 v4, v2, v0
	v_fma_f32 v2, v0, v3, -v1
	v_cvt_f64_f32_e32 v[0:1], v4
	v_cvt_f64_f32_e32 v[2:3], v2
	v_mul_f64 v[0:1], v[0:1], s[4:5]
	v_mul_f64 v[2:3], v[2:3], s[4:5]
	v_cvt_f32_f64_e32 v0, v[0:1]
	v_cvt_f32_f64_e32 v1, v[2:3]
	global_store_dwordx2 v[7:8], v[0:1], off
	global_load_dwordx2 v[9:10], v[166:167], off offset:1376
	ds_read2_b64 v[0:3], v6 offset0:44 offset1:169
	s_waitcnt vmcnt(0) lgkmcnt(0)
	v_mul_f32_e32 v4, v1, v10
	v_mul_f32_e32 v6, v0, v10
	v_fmac_f32_e32 v4, v0, v9
	v_fma_f32 v6, v9, v1, -v6
	v_cvt_f64_f32_e32 v[0:1], v4
	v_cvt_f64_f32_e32 v[9:10], v6
	v_add_co_u32 v6, vcc_lo, v7, s2
	v_add_co_ci_u32_e32 v7, vcc_lo, s3, v8, vcc_lo
	v_mul_f64 v[0:1], v[0:1], s[4:5]
	v_mul_f64 v[9:10], v[9:10], s[4:5]
	v_cvt_f32_f64_e32 v0, v[0:1]
	v_cvt_f32_f64_e32 v1, v[9:10]
	global_store_dwordx2 v[6:7], v[0:1], off
	global_load_dwordx2 v[0:1], v[164:165], off offset:328
	v_add_co_u32 v6, vcc_lo, v6, s2
	v_add_co_ci_u32_e32 v7, vcc_lo, s3, v7, vcc_lo
	s_waitcnt vmcnt(0)
	v_mul_f32_e32 v4, v3, v1
	v_mul_f32_e32 v1, v2, v1
	v_fmac_f32_e32 v4, v2, v0
	v_fma_f32 v2, v0, v3, -v1
	v_cvt_f64_f32_e32 v[0:1], v4
	v_cvt_f64_f32_e32 v[2:3], v2
	v_mul_f64 v[0:1], v[0:1], s[4:5]
	v_mul_f64 v[2:3], v[2:3], s[4:5]
	v_cvt_f32_f64_e32 v0, v[0:1]
	v_cvt_f32_f64_e32 v1, v[2:3]
	global_store_dwordx2 v[6:7], v[0:1], off
	global_load_dwordx2 v[8:9], v[164:165], off offset:1328
	ds_read2_b64 v[0:3], v5 offset0:38 offset1:163
	s_waitcnt vmcnt(0) lgkmcnt(0)
	v_mul_f32_e32 v4, v1, v9
	v_mul_f32_e32 v5, v0, v9
	v_fmac_f32_e32 v4, v0, v8
	v_fma_f32 v5, v8, v1, -v5
	v_cvt_f64_f32_e32 v[0:1], v4
	v_cvt_f64_f32_e32 v[4:5], v5
	v_mul_f64 v[0:1], v[0:1], s[4:5]
	v_mul_f64 v[4:5], v[4:5], s[4:5]
	v_cvt_f32_f64_e32 v0, v[0:1]
	v_cvt_f32_f64_e32 v1, v[4:5]
	v_add_co_u32 v4, vcc_lo, v6, s2
	v_add_co_ci_u32_e32 v5, vcc_lo, s3, v7, vcc_lo
	global_store_dwordx2 v[4:5], v[0:1], off
	global_load_dwordx2 v[0:1], v[162:163], off offset:280
	v_add_co_u32 v4, vcc_lo, v4, s2
	v_add_co_ci_u32_e32 v5, vcc_lo, s3, v5, vcc_lo
	s_waitcnt vmcnt(0)
	v_mul_f32_e32 v6, v3, v1
	v_mul_f32_e32 v1, v2, v1
	v_fmac_f32_e32 v6, v2, v0
	v_fma_f32 v2, v0, v3, -v1
	v_cvt_f64_f32_e32 v[0:1], v6
	v_cvt_f64_f32_e32 v[2:3], v2
	v_mul_f64 v[0:1], v[0:1], s[4:5]
	v_mul_f64 v[2:3], v[2:3], s[4:5]
	v_cvt_f32_f64_e32 v0, v[0:1]
	v_cvt_f32_f64_e32 v1, v[2:3]
	global_store_dwordx2 v[4:5], v[0:1], off
	global_load_dwordx2 v[6:7], v[162:163], off offset:1280
	v_add_nc_u32_e32 v0, 0x2c00, v205
	v_add_co_u32 v4, vcc_lo, v4, s2
	v_add_co_ci_u32_e32 v5, vcc_lo, s3, v5, vcc_lo
	ds_read2_b64 v[0:3], v0 offset0:32 offset1:157
	s_waitcnt vmcnt(0) lgkmcnt(0)
	v_mul_f32_e32 v8, v1, v7
	v_mul_f32_e32 v7, v0, v7
	v_fmac_f32_e32 v8, v0, v6
	v_fma_f32 v6, v6, v1, -v7
	v_cvt_f64_f32_e32 v[0:1], v8
	v_cvt_f64_f32_e32 v[6:7], v6
	v_mul_f64 v[0:1], v[0:1], s[4:5]
	v_mul_f64 v[6:7], v[6:7], s[4:5]
	v_cvt_f32_f64_e32 v0, v[0:1]
	v_cvt_f32_f64_e32 v1, v[6:7]
	global_store_dwordx2 v[4:5], v[0:1], off
	global_load_dwordx2 v[0:1], v[201:202], off offset:232
	s_waitcnt vmcnt(0)
	v_mul_f32_e32 v6, v3, v1
	v_mul_f32_e32 v1, v2, v1
	v_fmac_f32_e32 v6, v2, v0
	v_fma_f32 v2, v0, v3, -v1
	v_cvt_f64_f32_e32 v[0:1], v6
	v_cvt_f64_f32_e32 v[2:3], v2
	v_mul_f64 v[0:1], v[0:1], s[4:5]
	v_mul_f64 v[2:3], v[2:3], s[4:5]
	v_cvt_f32_f64_e32 v0, v[0:1]
	v_cvt_f32_f64_e32 v1, v[2:3]
	v_add_co_u32 v2, vcc_lo, v4, s2
	v_add_co_ci_u32_e32 v3, vcc_lo, s3, v5, vcc_lo
	global_store_dwordx2 v[2:3], v[0:1], off
.LBB0_15:
	s_endpgm
	.section	.rodata,"a",@progbits
	.p2align	6, 0x0
	.amdhsa_kernel bluestein_single_back_len1625_dim1_sp_op_CI_CI
		.amdhsa_group_segment_fixed_size 26000
		.amdhsa_private_segment_fixed_size 60
		.amdhsa_kernarg_size 104
		.amdhsa_user_sgpr_count 6
		.amdhsa_user_sgpr_private_segment_buffer 1
		.amdhsa_user_sgpr_dispatch_ptr 0
		.amdhsa_user_sgpr_queue_ptr 0
		.amdhsa_user_sgpr_kernarg_segment_ptr 1
		.amdhsa_user_sgpr_dispatch_id 0
		.amdhsa_user_sgpr_flat_scratch_init 0
		.amdhsa_user_sgpr_private_segment_size 0
		.amdhsa_wavefront_size32 1
		.amdhsa_uses_dynamic_stack 0
		.amdhsa_system_sgpr_private_segment_wavefront_offset 1
		.amdhsa_system_sgpr_workgroup_id_x 1
		.amdhsa_system_sgpr_workgroup_id_y 0
		.amdhsa_system_sgpr_workgroup_id_z 0
		.amdhsa_system_sgpr_workgroup_info 0
		.amdhsa_system_vgpr_workitem_id 0
		.amdhsa_next_free_vgpr 256
		.amdhsa_next_free_sgpr 20
		.amdhsa_reserve_vcc 1
		.amdhsa_reserve_flat_scratch 0
		.amdhsa_float_round_mode_32 0
		.amdhsa_float_round_mode_16_64 0
		.amdhsa_float_denorm_mode_32 3
		.amdhsa_float_denorm_mode_16_64 3
		.amdhsa_dx10_clamp 1
		.amdhsa_ieee_mode 1
		.amdhsa_fp16_overflow 0
		.amdhsa_workgroup_processor_mode 1
		.amdhsa_memory_ordered 1
		.amdhsa_forward_progress 0
		.amdhsa_shared_vgpr_count 0
		.amdhsa_exception_fp_ieee_invalid_op 0
		.amdhsa_exception_fp_denorm_src 0
		.amdhsa_exception_fp_ieee_div_zero 0
		.amdhsa_exception_fp_ieee_overflow 0
		.amdhsa_exception_fp_ieee_underflow 0
		.amdhsa_exception_fp_ieee_inexact 0
		.amdhsa_exception_int_div_zero 0
	.end_amdhsa_kernel
	.text
.Lfunc_end0:
	.size	bluestein_single_back_len1625_dim1_sp_op_CI_CI, .Lfunc_end0-bluestein_single_back_len1625_dim1_sp_op_CI_CI
                                        ; -- End function
	.section	.AMDGPU.csdata,"",@progbits
; Kernel info:
; codeLenInByte = 33552
; NumSgprs: 22
; NumVgprs: 256
; ScratchSize: 60
; MemoryBound: 0
; FloatMode: 240
; IeeeMode: 1
; LDSByteSize: 26000 bytes/workgroup (compile time only)
; SGPRBlocks: 2
; VGPRBlocks: 31
; NumSGPRsForWavesPerEU: 22
; NumVGPRsForWavesPerEU: 256
; Occupancy: 4
; WaveLimiterHint : 1
; COMPUTE_PGM_RSRC2:SCRATCH_EN: 1
; COMPUTE_PGM_RSRC2:USER_SGPR: 6
; COMPUTE_PGM_RSRC2:TRAP_HANDLER: 0
; COMPUTE_PGM_RSRC2:TGID_X_EN: 1
; COMPUTE_PGM_RSRC2:TGID_Y_EN: 0
; COMPUTE_PGM_RSRC2:TGID_Z_EN: 0
; COMPUTE_PGM_RSRC2:TIDIG_COMP_CNT: 0
	.text
	.p2alignl 6, 3214868480
	.fill 48, 4, 3214868480
	.type	__hip_cuid_bad1a4635266a72e,@object ; @__hip_cuid_bad1a4635266a72e
	.section	.bss,"aw",@nobits
	.globl	__hip_cuid_bad1a4635266a72e
__hip_cuid_bad1a4635266a72e:
	.byte	0                               ; 0x0
	.size	__hip_cuid_bad1a4635266a72e, 1

	.ident	"AMD clang version 19.0.0git (https://github.com/RadeonOpenCompute/llvm-project roc-6.4.0 25133 c7fe45cf4b819c5991fe208aaa96edf142730f1d)"
	.section	".note.GNU-stack","",@progbits
	.addrsig
	.addrsig_sym __hip_cuid_bad1a4635266a72e
	.amdgpu_metadata
---
amdhsa.kernels:
  - .args:
      - .actual_access:  read_only
        .address_space:  global
        .offset:         0
        .size:           8
        .value_kind:     global_buffer
      - .actual_access:  read_only
        .address_space:  global
        .offset:         8
        .size:           8
        .value_kind:     global_buffer
      - .actual_access:  read_only
        .address_space:  global
        .offset:         16
        .size:           8
        .value_kind:     global_buffer
      - .actual_access:  read_only
        .address_space:  global
        .offset:         24
        .size:           8
        .value_kind:     global_buffer
      - .actual_access:  read_only
        .address_space:  global
        .offset:         32
        .size:           8
        .value_kind:     global_buffer
      - .offset:         40
        .size:           8
        .value_kind:     by_value
      - .address_space:  global
        .offset:         48
        .size:           8
        .value_kind:     global_buffer
      - .address_space:  global
        .offset:         56
        .size:           8
        .value_kind:     global_buffer
      - .address_space:  global
        .offset:         64
        .size:           8
        .value_kind:     global_buffer
      - .address_space:  global
        .offset:         72
        .size:           8
        .value_kind:     global_buffer
      - .offset:         80
        .size:           4
        .value_kind:     by_value
      - .address_space:  global
        .offset:         88
        .size:           8
        .value_kind:     global_buffer
      - .address_space:  global
        .offset:         96
        .size:           8
        .value_kind:     global_buffer
    .group_segment_fixed_size: 26000
    .kernarg_segment_align: 8
    .kernarg_segment_size: 104
    .language:       OpenCL C
    .language_version:
      - 2
      - 0
    .max_flat_workgroup_size: 130
    .name:           bluestein_single_back_len1625_dim1_sp_op_CI_CI
    .private_segment_fixed_size: 60
    .sgpr_count:     22
    .sgpr_spill_count: 0
    .symbol:         bluestein_single_back_len1625_dim1_sp_op_CI_CI.kd
    .uniform_work_group_size: 1
    .uses_dynamic_stack: false
    .vgpr_count:     256
    .vgpr_spill_count: 14
    .wavefront_size: 32
    .workgroup_processor_mode: 1
amdhsa.target:   amdgcn-amd-amdhsa--gfx1030
amdhsa.version:
  - 1
  - 2
...

	.end_amdgpu_metadata
